;; amdgpu-corpus repo=ROCm/rocFFT kind=compiled arch=gfx1100 opt=O3
	.text
	.amdgcn_target "amdgcn-amd-amdhsa--gfx1100"
	.amdhsa_code_object_version 6
	.protected	bluestein_single_fwd_len1936_dim1_dp_op_CI_CI ; -- Begin function bluestein_single_fwd_len1936_dim1_dp_op_CI_CI
	.globl	bluestein_single_fwd_len1936_dim1_dp_op_CI_CI
	.p2align	8
	.type	bluestein_single_fwd_len1936_dim1_dp_op_CI_CI,@function
bluestein_single_fwd_len1936_dim1_dp_op_CI_CI: ; @bluestein_single_fwd_len1936_dim1_dp_op_CI_CI
; %bb.0:
	s_load_b128 s[8:11], s[0:1], 0x28
	v_mul_u32_u24_e32 v1, 0x175, v0
	s_mov_b32 s2, exec_lo
	v_mov_b32_e32 v3, 0
	s_delay_alu instid0(VALU_DEP_2) | instskip(NEXT) | instid1(VALU_DEP_1)
	v_lshrrev_b32_e32 v1, 16, v1
	v_add_nc_u32_e32 v2, s15, v1
	s_waitcnt lgkmcnt(0)
	s_delay_alu instid0(VALU_DEP_1)
	v_cmpx_gt_u64_e64 s[8:9], v[2:3]
	s_cbranch_execz .LBB0_31
; %bb.1:
	s_clause 0x1
	s_load_b128 s[4:7], s[0:1], 0x18
	s_load_b64 s[2:3], s[0:1], 0x0
	v_mul_lo_u16 v1, 0xb0, v1
	s_delay_alu instid0(VALU_DEP_1) | instskip(NEXT) | instid1(VALU_DEP_1)
	v_sub_nc_u16 v0, v0, v1
	v_dual_mov_b32 v1, v2 :: v_dual_and_b32 v192, 0xffff, v0
	s_waitcnt lgkmcnt(0)
	s_load_b128 s[12:15], s[4:5], 0x0
	s_waitcnt lgkmcnt(0)
	v_mad_u64_u32 v[20:21], null, s14, v2, 0
	v_lshlrev_b32_e32 v191, 4, v192
	v_mad_u64_u32 v[22:23], null, s12, v192, 0
	s_mul_hi_u32 s5, s12, 0x3c8
	s_mul_hi_u32 s9, s12, 0xfffffce8
	s_mul_i32 s8, s13, 0xfffffce8
	s_delay_alu instid0(VALU_DEP_3) | instskip(SKIP_4) | instid1(VALU_DEP_1)
	v_mov_b32_e32 v10, v21
	s_clause 0x1
	global_load_b128 v[15:18], v191, s[2:3]
	global_load_b128 v[122:125], v191, s[2:3] offset:2816
	v_add_co_u32 v193, s4, s2, v191
	v_add_co_ci_u32_e64 v194, null, s3, 0, s4
	v_mad_u64_u32 v[26:27], null, s15, v2, v[10:11]
	v_mov_b32_e32 v14, v23
	s_delay_alu instid0(VALU_DEP_4) | instskip(NEXT) | instid1(VALU_DEP_4)
	v_add_co_u32 v3, vcc_lo, 0x3000, v193
	v_add_co_ci_u32_e32 v4, vcc_lo, 0, v194, vcc_lo
	v_add_co_u32 v8, vcc_lo, 0x4000, v193
	v_mov_b32_e32 v21, v26
	v_add_co_ci_u32_e32 v9, vcc_lo, 0, v194, vcc_lo
	v_add_co_u32 v12, vcc_lo, 0x1000, v193
	v_add_co_ci_u32_e32 v13, vcc_lo, 0, v194, vcc_lo
	v_add_co_u32 v24, vcc_lo, 0x5000, v193
	;; [unrolled: 2-line block ×3, first 2 shown]
	v_lshlrev_b64 v[20:21], 4, v[20:21]
	v_add_co_ci_u32_e32 v33, vcc_lo, 0, v194, vcc_lo
	v_add_co_u32 v36, vcc_lo, 0x6000, v193
	v_add_co_ci_u32_e32 v37, vcc_lo, 0, v194, vcc_lo
	s_clause 0x1
	scratch_store_b64 off, v[1:2], off offset:16
	scratch_store_b64 off, v[3:4], off offset:24
	v_add_co_u32 v1, vcc_lo, s10, v20
	v_add_co_ci_u32_e32 v2, vcc_lo, s11, v21, vcc_lo
	s_mul_i32 s3, s13, 0x3c8
	s_mul_i32 s2, s12, 0x3c8
	s_add_i32 s3, s5, s3
	s_sub_i32 s5, s9, s12
	s_lshl_b64 s[10:11], s[2:3], 4
	s_mul_i32 s4, s12, 0xfffffce8
	s_add_i32 s5, s5, s8
	s_clause 0x1
	global_load_b128 v[126:129], v[3:4], off offset:3200
	global_load_b128 v[3:6], v[8:9], off offset:1920
	s_lshl_b64 s[2:3], s[4:5], 4
	global_load_b128 v[7:10], v[12:13], off offset:1536
	s_waitcnt vmcnt(4)
	v_mad_u64_u32 v[27:28], null, s13, v192, v[14:15]
	global_load_b128 v[11:14], v[32:33], off offset:256
	v_mov_b32_e32 v23, v27
	s_delay_alu instid0(VALU_DEP_1) | instskip(NEXT) | instid1(VALU_DEP_1)
	v_lshlrev_b64 v[22:23], 4, v[22:23]
	v_add_co_u32 v34, vcc_lo, v1, v22
	s_delay_alu instid0(VALU_DEP_2)
	v_add_co_ci_u32_e32 v35, vcc_lo, v2, v23, vcc_lo
	s_clause 0x1
	global_load_b128 v[26:29], v[24:25], off offset:640
	global_load_b128 v[19:22], v[24:25], off offset:3456
	v_add_co_u32 v38, vcc_lo, v34, s10
	v_add_co_ci_u32_e32 v39, vcc_lo, s11, v35, vcc_lo
	s_clause 0x1
	global_load_b128 v[42:45], v[34:35], off
	global_load_b128 v[46:49], v[38:39], off
	v_add_co_u32 v40, vcc_lo, v38, s2
	v_add_co_ci_u32_e32 v41, vcc_lo, s3, v39, vcc_lo
	s_delay_alu instid0(VALU_DEP_2) | instskip(NEXT) | instid1(VALU_DEP_2)
	v_add_co_u32 v54, vcc_lo, v40, s10
	v_add_co_ci_u32_e32 v55, vcc_lo, s11, v41, vcc_lo
	s_delay_alu instid0(VALU_DEP_2) | instskip(NEXT) | instid1(VALU_DEP_2)
	v_add_co_u32 v58, vcc_lo, v54, s2
	v_add_co_ci_u32_e32 v59, vcc_lo, s3, v55, vcc_lo
	s_clause 0x1
	global_load_b128 v[50:53], v[40:41], off
	global_load_b128 v[54:57], v[54:55], off
	v_add_co_u32 v34, vcc_lo, v58, s10
	v_add_co_ci_u32_e32 v35, vcc_lo, s11, v59, vcc_lo
	global_load_b128 v[58:61], v[58:59], off
	v_add_co_u32 v38, vcc_lo, v34, s2
	v_add_co_ci_u32_e32 v39, vcc_lo, s3, v35, vcc_lo
	;; [unrolled: 3-line block ×4, first 2 shown]
	s_delay_alu instid0(VALU_DEP_2) | instskip(NEXT) | instid1(VALU_DEP_2)
	v_add_co_u32 v40, vcc_lo, v74, s10
	v_add_co_ci_u32_e32 v41, vcc_lo, s11, v75, vcc_lo
	global_load_b128 v[70:73], v[70:71], off
	global_load_b128 v[30:33], v[32:33], off offset:3072
	global_load_b128 v[74:77], v[74:75], off
	global_load_b128 v[34:37], v[36:37], off offset:2176
	global_load_b128 v[78:81], v[40:41], off
	scratch_store_b128 off, v[15:18], off offset:32 ; 16-byte Folded Spill
	s_waitcnt vmcnt(18)
	scratch_store_b128 off, v[122:125], off offset:48 ; 16-byte Folded Spill
	s_waitcnt vmcnt(17)
	;; [unrolled: 2-line block ×4, first 2 shown]
	scratch_store_b128 off, v[7:10], off offset:80 ; 16-byte Folded Spill
	v_cmp_gt_u16_e32 vcc_lo, 0x58, v0
	s_waitcnt vmcnt(14)
	scratch_store_b128 off, v[11:14], off offset:112 ; 16-byte Folded Spill
	s_waitcnt vmcnt(13)
	scratch_store_b128 off, v[26:29], off offset:144 ; 16-byte Folded Spill
	;; [unrolled: 2-line block ×3, first 2 shown]
	s_waitcnt vmcnt(11)
	v_mul_f64 v[82:83], v[44:45], v[17:18]
	v_mul_f64 v[84:85], v[42:43], v[17:18]
	s_waitcnt vmcnt(10)
	v_mul_f64 v[86:87], v[48:49], v[128:129]
	v_mul_f64 v[88:89], v[46:47], v[128:129]
	;; [unrolled: 3-line block ×10, first 2 shown]
	v_fma_f64 v[42:43], v[42:43], v[15:16], v[82:83]
	v_fma_f64 v[44:45], v[44:45], v[15:16], -v[84:85]
	v_fma_f64 v[46:47], v[46:47], v[126:127], v[86:87]
	v_fma_f64 v[48:49], v[48:49], v[126:127], -v[88:89]
	s_clause 0x1
	scratch_store_b128 off, v[30:33], off offset:160
	scratch_store_b128 off, v[34:37], off offset:176
	s_load_b64 s[8:9], s[0:1], 0x38
	s_load_b128 s[4:7], s[6:7], 0x0
	v_fma_f64 v[50:51], v[50:51], v[122:123], v[90:91]
	v_fma_f64 v[52:53], v[52:53], v[122:123], -v[92:93]
	v_fma_f64 v[54:55], v[54:55], v[3:4], v[94:95]
	v_fma_f64 v[56:57], v[56:57], v[3:4], -v[96:97]
	v_fma_f64 v[58:59], v[58:59], v[7:8], v[98:99]
	v_fma_f64 v[60:61], v[60:61], v[7:8], -v[100:101]
	v_fma_f64 v[62:63], v[62:63], v[26:27], v[102:103]
	v_fma_f64 v[64:65], v[64:65], v[26:27], -v[104:105]
	v_fma_f64 v[66:67], v[66:67], v[11:12], v[106:107]
	v_fma_f64 v[68:69], v[68:69], v[11:12], -v[108:109]
	ds_store_b128 v191, v[42:45]
	ds_store_b128 v191, v[50:53] offset:2816
	ds_store_b128 v191, v[54:57] offset:18304
	;; [unrolled: 1-line block ×5, first 2 shown]
	v_fma_f64 v[74:75], v[74:75], v[30:31], v[114:115]
	v_fma_f64 v[76:77], v[76:77], v[30:31], -v[116:117]
	v_fma_f64 v[70:71], v[70:71], v[19:20], v[110:111]
	v_fma_f64 v[72:73], v[72:73], v[19:20], -v[112:113]
	;; [unrolled: 2-line block ×3, first 2 shown]
	ds_store_b128 v191, v[46:49] offset:15488
	ds_store_b128 v191, v[74:77] offset:11264
	;; [unrolled: 1-line block ×4, first 2 shown]
	s_and_saveexec_b32 s12, vcc_lo
	s_cbranch_execz .LBB0_3
; %bb.2:
	v_add_co_u32 v40, s2, v40, s2
	s_delay_alu instid0(VALU_DEP_1) | instskip(SKIP_1) | instid1(VALU_DEP_1)
	v_add_co_ci_u32_e64 v41, s2, s3, v41, s2
	v_add_co_u32 v48, s2, 0x7000, v193
	v_add_co_ci_u32_e64 v49, s2, 0, v194, s2
	s_delay_alu instid0(VALU_DEP_4) | instskip(NEXT) | instid1(VALU_DEP_1)
	v_add_co_u32 v52, s2, v40, s10
	v_add_co_ci_u32_e64 v53, s2, s11, v41, s2
	global_load_b128 v[40:43], v[40:41], off
	scratch_load_b64 v[0:1], off, off offset:24 ; 8-byte Folded Reload
	s_waitcnt vmcnt(0)
	s_clause 0x1
	global_load_b128 v[44:47], v[0:1], off offset:1792
	global_load_b128 v[48:51], v[48:49], off offset:896
	global_load_b128 v[52:55], v[52:53], off
	s_waitcnt vmcnt(2)
	v_mul_f64 v[56:57], v[42:43], v[46:47]
	v_mul_f64 v[46:47], v[40:41], v[46:47]
	s_waitcnt vmcnt(0)
	v_mul_f64 v[58:59], v[54:55], v[50:51]
	v_mul_f64 v[50:51], v[52:53], v[50:51]
	s_delay_alu instid0(VALU_DEP_4) | instskip(NEXT) | instid1(VALU_DEP_4)
	v_fma_f64 v[40:41], v[40:41], v[44:45], v[56:57]
	v_fma_f64 v[42:43], v[42:43], v[44:45], -v[46:47]
	s_delay_alu instid0(VALU_DEP_4) | instskip(NEXT) | instid1(VALU_DEP_4)
	v_fma_f64 v[44:45], v[52:53], v[48:49], v[58:59]
	v_fma_f64 v[46:47], v[54:55], v[48:49], -v[50:51]
	ds_store_b128 v191, v[40:43] offset:14080
	ds_store_b128 v191, v[44:47] offset:29568
.LBB0_3:
	s_or_b32 exec_lo, exec_lo, s12
	s_waitcnt lgkmcnt(0)
	s_waitcnt_vscnt null, 0x0
	s_barrier
	buffer_gl0_inv
	ds_load_b128 v[40:43], v191
	ds_load_b128 v[48:51], v191 offset:2816
	ds_load_b128 v[80:83], v191 offset:18304
	ds_load_b128 v[76:79], v191 offset:21120
	ds_load_b128 v[56:59], v191 offset:5632
	ds_load_b128 v[52:55], v191 offset:8448
	ds_load_b128 v[84:87], v191 offset:15488
	ds_load_b128 v[60:63], v191 offset:11264
	ds_load_b128 v[72:75], v191 offset:23936
	ds_load_b128 v[44:47], v191 offset:26752
                                        ; implicit-def: $vgpr68_vgpr69
                                        ; implicit-def: $vgpr64_vgpr65
	s_and_saveexec_b32 s2, vcc_lo
	s_cbranch_execz .LBB0_5
; %bb.4:
	ds_load_b128 v[64:67], v191 offset:14080
	ds_load_b128 v[68:71], v191 offset:29568
.LBB0_5:
	s_or_b32 exec_lo, exec_lo, s2
	s_waitcnt lgkmcnt(3)
	v_add_f64 v[84:85], v[40:41], -v[84:85]
	v_add_f64 v[86:87], v[42:43], -v[86:87]
	s_waitcnt lgkmcnt(0)
	v_add_f64 v[88:89], v[60:61], -v[44:45]
	v_add_f64 v[90:91], v[62:63], -v[46:47]
	;; [unrolled: 1-line block ×10, first 2 shown]
	s_load_b64 s[2:3], s[0:1], 0x8
	v_lshlrev_b32_e32 v92, 1, v192
	v_add_co_u32 v93, null, 0x370, v192
	v_add_co_u32 v109, null, 0xb0, v192
	;; [unrolled: 1-line block ×3, first 2 shown]
	s_delay_alu instid0(VALU_DEP_4)
	v_add_nc_u32_e32 v96, 0x420, v92
	v_add_nc_u32_e32 v97, 0x580, v92
	v_lshlrev_b32_e32 v1, 5, v93
	s_waitcnt lgkmcnt(0)
	s_barrier
	buffer_gl0_inv
	v_lshlrev_b32_e32 v2, 5, v192
	v_lshlrev_b32_e32 v94, 1, v109
	;; [unrolled: 1-line block ×5, first 2 shown]
	scratch_store_b32 off, v1, off offset:360 ; 4-byte Folded Spill
	v_lshlrev_b32_e32 v5, 4, v96
	v_lshlrev_b32_e32 v1, 4, v97
	v_lshlrev_b32_e32 v0, 4, v92
	v_fma_f64 v[68:69], v[40:41], 2.0, -v[84:85]
	v_fma_f64 v[70:71], v[42:43], 2.0, -v[86:87]
	v_fma_f64 v[60:61], v[60:61], 2.0, -v[88:89]
	v_fma_f64 v[62:63], v[62:63], 2.0, -v[90:91]
	v_fma_f64 v[40:41], v[64:65], 2.0, -v[44:45]
	v_fma_f64 v[42:43], v[66:67], 2.0, -v[46:47]
	v_fma_f64 v[56:57], v[56:57], 2.0, -v[76:77]
	v_fma_f64 v[58:59], v[58:59], 2.0, -v[78:79]
	v_fma_f64 v[52:53], v[52:53], 2.0, -v[72:73]
	v_fma_f64 v[54:55], v[54:55], 2.0, -v[74:75]
	v_fma_f64 v[48:49], v[48:49], 2.0, -v[80:81]
	v_fma_f64 v[50:51], v[50:51], 2.0, -v[82:83]
	ds_store_b128 v2, v[68:71]
	ds_store_b128 v2, v[84:87] offset:16
	ds_store_b128 v3, v[48:51]
	scratch_store_b32 off, v3, off offset:192 ; 4-byte Folded Spill
	ds_store_b128 v3, v[80:83] offset:16
	ds_store_b128 v4, v[56:59]
	scratch_store_b32 off, v4, off offset:200 ; 4-byte Folded Spill
	ds_store_b128 v4, v[76:79] offset:16
	ds_store_b128 v0, v[52:55] offset:16896
	scratch_store_b32 off, v5, off offset:204 ; 4-byte Folded Spill
	ds_store_b128 v5, v[72:75] offset:16
	ds_store_b128 v0, v[60:63] offset:22528
	scratch_store_b32 off, v1, off offset:196 ; 4-byte Folded Spill
	ds_store_b128 v1, v[88:91] offset:16
	s_and_saveexec_b32 s0, vcc_lo
	s_cbranch_execz .LBB0_7
; %bb.6:
	v_lshlrev_b32_e32 v0, 5, v93
	ds_store_b128 v0, v[40:43]
	ds_store_b128 v0, v[44:47] offset:16
.LBB0_7:
	s_or_b32 exec_lo, exec_lo, s0
	s_waitcnt lgkmcnt(0)
	s_waitcnt_vscnt null, 0x0
	s_barrier
	buffer_gl0_inv
	ds_load_b128 v[48:51], v191
	ds_load_b128 v[56:59], v191 offset:2816
	ds_load_b128 v[60:63], v191 offset:18304
	;; [unrolled: 1-line block ×9, first 2 shown]
	s_and_saveexec_b32 s0, vcc_lo
	s_cbranch_execz .LBB0_9
; %bb.8:
	ds_load_b128 v[40:43], v191 offset:14080
	ds_load_b128 v[44:47], v191 offset:29568
.LBB0_9:
	s_or_b32 exec_lo, exec_lo, s0
	v_and_b32_e32 v4, 1, v192
	s_delay_alu instid0(VALU_DEP_1)
	v_lshlrev_b32_e32 v0, 4, v4
	v_and_or_b32 v1, 0x3fc, v94, v4
	v_and_or_b32 v2, 0x7fc, v95, v4
	;; [unrolled: 1-line block ×3, first 2 shown]
	global_load_b128 v[52:55], v0, s[2:3]
	v_lshlrev_b32_e32 v0, 1, v93
	v_lshlrev_b32_e32 v5, 4, v1
	;; [unrolled: 1-line block ×4, first 2 shown]
	scratch_store_b32 off, v0, off offset:208 ; 4-byte Folded Spill
	v_and_or_b32 v0, 0x1fc, v92, v4
	v_and_or_b32 v4, 0x7fc, v97, v4
	s_waitcnt vmcnt(0) lgkmcnt(0)
	s_waitcnt_vscnt null, 0x0
	s_barrier
	buffer_gl0_inv
	v_lshlrev_b32_e32 v6, 4, v0
	v_lshlrev_b32_e32 v0, 4, v4
	scratch_store_b32 off, v6, off offset:264 ; 4-byte Folded Spill
	v_mul_f64 v[98:99], v[90:91], v[54:55]
	v_mul_f64 v[100:101], v[88:89], v[54:55]
	;; [unrolled: 1-line block ×12, first 2 shown]
	v_fma_f64 v[88:89], v[88:89], v[52:53], -v[98:99]
	v_fma_f64 v[90:91], v[90:91], v[52:53], v[100:101]
	v_fma_f64 v[60:61], v[60:61], v[52:53], -v[102:103]
	v_fma_f64 v[62:63], v[62:63], v[52:53], v[104:105]
	v_fma_f64 v[64:65], v[64:65], v[52:53], -v[106:107]
	v_fma_f64 v[66:67], v[66:67], v[52:53], v[110:111]
	v_fma_f64 v[98:99], v[84:85], v[52:53], -v[112:113]
	v_fma_f64 v[100:101], v[86:87], v[52:53], v[114:115]
	v_fma_f64 v[102:103], v[80:81], v[52:53], -v[116:117]
	v_fma_f64 v[104:105], v[82:83], v[52:53], v[118:119]
	v_fma_f64 v[106:107], v[44:45], v[52:53], -v[120:121]
	v_fma_f64 v[110:111], v[46:47], v[52:53], v[122:123]
	v_add_f64 v[44:45], v[48:49], -v[88:89]
	v_add_f64 v[46:47], v[50:51], -v[90:91]
	;; [unrolled: 1-line block ×12, first 2 shown]
	v_fma_f64 v[48:49], v[48:49], 2.0, -v[44:45]
	v_fma_f64 v[50:51], v[50:51], 2.0, -v[46:47]
	;; [unrolled: 1-line block ×12, first 2 shown]
	ds_store_b128 v6, v[48:51]
	ds_store_b128 v6, v[44:47] offset:32
	ds_store_b128 v5, v[98:101]
	scratch_store_b32 off, v5, off offset:260 ; 4-byte Folded Spill
	ds_store_b128 v5, v[80:83] offset:32
	ds_store_b128 v2, v[72:75]
	scratch_store_b32 off, v2, off offset:256 ; 4-byte Folded Spill
	;; [unrolled: 3-line block ×4, first 2 shown]
	ds_store_b128 v0, v[60:63] offset:32
	s_and_saveexec_b32 s0, vcc_lo
	s_cbranch_execz .LBB0_11
; %bb.10:
	scratch_load_b32 v1, off, off offset:208 ; 4-byte Folded Reload
	v_and_b32_e32 v0, 1, v192
	s_waitcnt vmcnt(0)
	s_delay_alu instid0(VALU_DEP_1) | instskip(NEXT) | instid1(VALU_DEP_1)
	v_and_or_b32 v0, 0x7fc, v1, v0
	v_lshlrev_b32_e32 v0, 4, v0
	ds_store_b128 v0, v[68:71]
	ds_store_b128 v0, v[64:67] offset:32
.LBB0_11:
	s_or_b32 exec_lo, exec_lo, s0
	s_waitcnt lgkmcnt(0)
	s_waitcnt_vscnt null, 0x0
	s_barrier
	buffer_gl0_inv
	ds_load_b128 v[72:75], v191
	ds_load_b128 v[76:79], v191 offset:2816
	ds_load_b128 v[92:95], v191 offset:7744
	;; [unrolled: 1-line block ×7, first 2 shown]
	v_cmp_gt_u16_e64 s0, 0x84, v192
	s_delay_alu instid0(VALU_DEP_1)
	s_and_saveexec_b32 s1, s0
	s_cbranch_execz .LBB0_13
; %bb.12:
	ds_load_b128 v[56:59], v191 offset:5632
	ds_load_b128 v[60:63], v191 offset:13376
	ds_load_b128 v[68:71], v191 offset:21120
	ds_load_b128 v[64:67], v191 offset:28864
.LBB0_13:
	s_or_b32 exec_lo, exec_lo, s1
	v_and_b32_e32 v2, 3, v192
	v_lshlrev_b32_e32 v0, 2, v192
	v_lshlrev_b32_e32 v1, 2, v109
	s_delay_alu instid0(VALU_DEP_3) | instskip(NEXT) | instid1(VALU_DEP_3)
	v_mad_u64_u32 v[40:41], null, v2, 48, s[2:3]
	v_and_or_b32 v0, 0x3f0, v0, v2
	s_delay_alu instid0(VALU_DEP_3)
	v_and_or_b32 v1, 0x7f0, v1, v2
	v_lshlrev_b32_e32 v2, 2, v108
	s_clause 0x2
	global_load_b128 v[48:51], v[40:41], off offset:32
	global_load_b128 v[44:47], v[40:41], off offset:48
	global_load_b128 v[40:43], v[40:41], off offset:64
	v_lshlrev_b32_e32 v0, 4, v0
	v_lshlrev_b32_e32 v201, 4, v1
	scratch_store_b32 off, v2, off offset:252 ; 4-byte Folded Spill
	s_waitcnt vmcnt(2) lgkmcnt(4)
	v_mul_f64 v[120:121], v[80:81], v[50:51]
	s_waitcnt vmcnt(1) lgkmcnt(2)
	v_mul_f64 v[122:123], v[86:87], v[46:47]
	v_mul_f64 v[124:125], v[84:85], v[46:47]
	s_waitcnt vmcnt(0) lgkmcnt(0)
	v_mul_f64 v[128:129], v[88:89], v[42:43]
	v_mul_f64 v[118:119], v[82:83], v[50:51]
	;; [unrolled: 1-line block ×9, first 2 shown]
	v_fma_f64 v[82:83], v[82:83], v[48:49], v[120:121]
	v_fma_f64 v[84:85], v[84:85], v[44:45], -v[122:123]
	v_fma_f64 v[86:87], v[86:87], v[44:45], v[124:125]
	v_fma_f64 v[90:91], v[90:91], v[40:41], v[128:129]
	v_fma_f64 v[80:81], v[80:81], v[48:49], -v[118:119]
	v_fma_f64 v[88:89], v[88:89], v[40:41], -v[126:127]
	;; [unrolled: 1-line block ×3, first 2 shown]
	v_fma_f64 v[94:95], v[94:95], v[48:49], v[106:107]
	v_fma_f64 v[96:97], v[96:97], v[44:45], -v[110:111]
	v_fma_f64 v[98:99], v[98:99], v[44:45], v[112:113]
	v_fma_f64 v[100:101], v[100:101], v[40:41], -v[114:115]
	v_fma_f64 v[102:103], v[102:103], v[40:41], v[116:117]
	v_mul_f64 v[104:105], v[62:63], v[50:51]
	v_mul_f64 v[106:107], v[70:71], v[46:47]
	;; [unrolled: 1-line block ×4, first 2 shown]
	v_add_f64 v[110:111], v[76:77], -v[84:85]
	v_add_f64 v[112:113], v[78:79], -v[86:87]
	;; [unrolled: 1-line block ×3, first 2 shown]
	v_mul_f64 v[86:87], v[60:61], v[50:51]
	v_mul_f64 v[90:91], v[68:69], v[46:47]
	v_add_f64 v[88:89], v[80:81], -v[88:89]
	v_add_f64 v[96:97], v[72:73], -v[96:97]
	;; [unrolled: 1-line block ×5, first 2 shown]
	v_fma_f64 v[60:61], v[60:61], v[48:49], -v[104:105]
	v_fma_f64 v[68:69], v[68:69], v[44:45], -v[106:107]
	v_fma_f64 v[118:119], v[76:77], 2.0, -v[110:111]
	v_fma_f64 v[120:121], v[78:79], 2.0, -v[112:113]
	;; [unrolled: 1-line block ×3, first 2 shown]
	v_fma_f64 v[62:63], v[62:63], v[48:49], v[86:87]
	v_fma_f64 v[70:71], v[70:71], v[44:45], v[90:91]
	;; [unrolled: 1-line block ×3, first 2 shown]
	v_fma_f64 v[114:115], v[64:65], v[40:41], -v[116:117]
	v_fma_f64 v[78:79], v[80:81], 2.0, -v[88:89]
	v_fma_f64 v[104:105], v[72:73], 2.0, -v[96:97]
	;; [unrolled: 1-line block ×5, first 2 shown]
	v_add_f64 v[64:65], v[56:57], -v[68:69]
	v_add_f64 v[72:73], v[96:97], -v[102:103]
	v_add_f64 v[74:75], v[98:99], v[100:101]
	v_add_f64 v[76:77], v[110:111], -v[84:85]
	v_add_f64 v[86:87], v[120:121], -v[122:123]
	;; [unrolled: 1-line block ×6, first 2 shown]
	v_add_f64 v[78:79], v[112:113], v[88:89]
	v_add_f64 v[80:81], v[104:105], -v[92:93]
	v_add_f64 v[82:83], v[106:107], -v[94:95]
	v_fma_f64 v[88:89], v[96:97], 2.0, -v[72:73]
	v_fma_f64 v[90:91], v[98:99], 2.0, -v[74:75]
	;; [unrolled: 1-line block ×4, first 2 shown]
	v_add_f64 v[3:4], v[64:65], -v[70:71]
	v_add_f64 v[5:6], v[66:67], v[68:69]
	v_fma_f64 v[100:101], v[118:119], 2.0, -v[84:85]
	v_fma_f64 v[94:95], v[112:113], 2.0, -v[78:79]
	;; [unrolled: 1-line block ×4, first 2 shown]
	scratch_store_b128 off, v[3:6], off     ; 16-byte Folded Spill
	s_waitcnt_vscnt null, 0x0
	s_barrier
	buffer_gl0_inv
	ds_store_b128 v0, v[80:83] offset:128
	ds_store_b128 v0, v[72:75] offset:192
	ds_store_b128 v0, v[96:99]
	scratch_store_b32 off, v0, off offset:300 ; 4-byte Folded Spill
	ds_store_b128 v0, v[88:91] offset:64
	ds_store_b128 v201, v[100:103]
	ds_store_b128 v201, v[92:95] offset:64
	ds_store_b128 v201, v[84:87] offset:128
	ds_store_b128 v201, v[76:79] offset:192
	s_and_saveexec_b32 s1, s0
	s_cbranch_execz .LBB0_15
; %bb.14:
	s_clause 0x1
	scratch_load_b128 v[2:5], off, off
	scratch_load_b32 v1, off, off offset:252
	v_fma_f64 v[72:73], v[58:59], 2.0, -v[66:67]
	v_fma_f64 v[58:59], v[62:63], 2.0, -v[70:71]
	;; [unrolled: 1-line block ×4, first 2 shown]
	v_and_b32_e32 v0, 3, v192
	s_delay_alu instid0(VALU_DEP_4) | instskip(NEXT) | instid1(VALU_DEP_3)
	v_add_f64 v[58:59], v[72:73], -v[58:59]
	v_add_f64 v[56:57], v[70:71], -v[56:57]
	s_delay_alu instid0(VALU_DEP_2) | instskip(SKIP_2) | instid1(VALU_DEP_3)
	v_fma_f64 v[68:69], v[72:73], 2.0, -v[58:59]
	s_waitcnt vmcnt(1)
	v_fma_f64 v[62:63], v[66:67], 2.0, -v[4:5]
	v_fma_f64 v[66:67], v[70:71], 2.0, -v[56:57]
	;; [unrolled: 1-line block ×3, first 2 shown]
	s_waitcnt vmcnt(0)
	v_and_or_b32 v0, 0xff0, v1, v0
	s_delay_alu instid0(VALU_DEP_1)
	v_lshlrev_b32_e32 v0, 4, v0
	ds_store_b128 v0, v[66:69]
	ds_store_b128 v0, v[60:63] offset:64
	ds_store_b128 v0, v[56:59] offset:128
	;; [unrolled: 1-line block ×3, first 2 shown]
.LBB0_15:
	s_or_b32 exec_lo, exec_lo, s1
	v_and_b32_e32 v108, 15, v192
	s_waitcnt lgkmcnt(0)
	s_waitcnt_vscnt null, 0x0
	s_barrier
	buffer_gl0_inv
	s_mov_b32 s24, 0xf8bb580b
	v_mad_u64_u32 v[96:97], null, 0xa0, v108, s[2:3]
	s_mov_b32 s34, 0x8eee2c13
	s_mov_b32 s20, 0x43842ef
	;; [unrolled: 1-line block ×6, first 2 shown]
	s_clause 0x3
	global_load_b128 v[4:7], v[96:97], off offset:224
	global_load_b128 v[0:3], v[96:97], off offset:368
	;; [unrolled: 1-line block ×4, first 2 shown]
	ds_load_b128 v[76:79], v191 offset:2816
	ds_load_b128 v[72:75], v191 offset:28160
	ds_load_b128 v[109:112], v191
	s_mov_b32 s21, 0xbfefac9e
	s_mov_b32 s23, 0xbfe82f19
	;; [unrolled: 1-line block ×21, first 2 shown]
	s_waitcnt vmcnt(3) lgkmcnt(2)
	v_mul_f64 v[80:81], v[78:79], v[6:7]
	v_mul_f64 v[82:83], v[76:77], v[6:7]
	s_waitcnt vmcnt(2) lgkmcnt(1)
	v_mul_f64 v[84:85], v[72:73], v[2:3]
	v_mul_f64 v[86:87], v[74:75], v[2:3]
	s_clause 0x1
	scratch_store_b128 off, v[4:7], off offset:232
	scratch_store_b128 off, v[0:3], off offset:212
	s_waitcnt vmcnt(1)
	scratch_store_b128 off, v[8:11], off offset:268 ; 16-byte Folded Spill
	v_fma_f64 v[117:118], v[76:77], v[4:5], -v[80:81]
	v_fma_f64 v[119:120], v[78:79], v[4:5], v[82:83]
	ds_load_b128 v[76:79], v191 offset:5632
	v_fma_f64 v[143:144], v[74:75], v[0:1], v[84:85]
	v_fma_f64 v[141:142], v[72:73], v[0:1], -v[86:87]
	ds_load_b128 v[72:75], v191 offset:8448
	s_waitcnt lgkmcnt(1)
	v_mul_f64 v[80:81], v[78:79], v[10:11]
	v_add_f64 v[212:213], v[109:110], v[117:118]
	v_add_f64 v[214:215], v[111:112], v[119:120]
	;; [unrolled: 1-line block ×3, first 2 shown]
	s_delay_alu instid0(VALU_DEP_4) | instskip(SKIP_1) | instid1(VALU_DEP_1)
	v_fma_f64 v[145:146], v[76:77], v[8:9], -v[80:81]
	v_mul_f64 v[76:77], v[76:77], v[10:11]
	v_fma_f64 v[147:148], v[78:79], v[8:9], v[76:77]
	ds_load_b128 v[76:79], v191 offset:25344
	ds_load_b128 v[98:101], v191 offset:22528
	s_waitcnt vmcnt(0)
	scratch_store_b128 off, v[12:15], off offset:284 ; 16-byte Folded Spill
	s_clause 0x3
	global_load_b128 v[84:87], v[96:97], off offset:256
	global_load_b128 v[0:3], v[96:97], off offset:272
	;; [unrolled: 1-line block ×4, first 2 shown]
	s_waitcnt lgkmcnt(1)
	v_mul_f64 v[80:81], v[76:77], v[14:15]
	s_delay_alu instid0(VALU_DEP_1) | instskip(SKIP_1) | instid1(VALU_DEP_2)
	v_fma_f64 v[149:150], v[78:79], v[12:13], v[80:81]
	v_mul_f64 v[78:79], v[78:79], v[14:15]
	v_add_f64 v[228:229], v[147:148], v[149:150]
	s_delay_alu instid0(VALU_DEP_2) | instskip(NEXT) | instid1(VALU_DEP_1)
	v_fma_f64 v[151:152], v[76:77], v[12:13], -v[78:79]
	v_add_f64 v[222:223], v[145:146], v[151:152]
	v_add_f64 v[226:227], v[145:146], -v[151:152]
	s_delay_alu instid0(VALU_DEP_1) | instskip(SKIP_2) | instid1(VALU_DEP_1)
	v_mul_f64 v[230:231], v[226:227], s[34:35]
	v_mul_f64 v[185:186], v[226:227], s[22:23]
	;; [unrolled: 1-line block ×3, first 2 shown]
	v_fma_f64 v[10:11], v[228:229], s[10:11], v[8:9]
	v_fma_f64 v[8:9], v[228:229], s[10:11], -v[8:9]
	s_waitcnt vmcnt(3)
	v_mul_f64 v[76:77], v[74:75], v[86:87]
	s_delay_alu instid0(VALU_DEP_1) | instskip(SKIP_1) | instid1(VALU_DEP_1)
	v_fma_f64 v[153:154], v[72:73], v[84:85], -v[76:77]
	v_mul_f64 v[72:73], v[72:73], v[86:87]
	v_fma_f64 v[155:156], v[74:75], v[84:85], v[72:73]
	s_waitcnt vmcnt(1) lgkmcnt(0)
	v_mul_f64 v[72:73], v[98:99], v[94:95]
	s_delay_alu instid0(VALU_DEP_1) | instskip(SKIP_1) | instid1(VALU_DEP_2)
	v_fma_f64 v[157:158], v[100:101], v[92:93], v[72:73]
	v_mul_f64 v[72:73], v[100:101], v[94:95]
	v_add_f64 v[238:239], v[155:156], v[157:158]
	s_delay_alu instid0(VALU_DEP_2)
	v_fma_f64 v[159:160], v[98:99], v[92:93], -v[72:73]
	ds_load_b128 v[72:75], v191 offset:11264
	ds_load_b128 v[76:79], v191 offset:14080
	scratch_store_b128 off, v[0:3], off offset:336 ; 16-byte Folded Spill
	s_waitcnt lgkmcnt(1)
	v_mul_f64 v[98:99], v[74:75], v[2:3]
	v_add_f64 v[232:233], v[153:154], v[159:160]
	v_add_f64 v[236:237], v[153:154], -v[159:160]
	s_delay_alu instid0(VALU_DEP_3) | instskip(SKIP_1) | instid1(VALU_DEP_3)
	v_fma_f64 v[161:162], v[72:73], v[0:1], -v[98:99]
	v_mul_f64 v[72:73], v[72:73], v[2:3]
	v_mul_f64 v[240:241], v[236:237], s[20:21]
	;; [unrolled: 1-line block ×4, first 2 shown]
	s_delay_alu instid0(VALU_DEP_4)
	v_fma_f64 v[163:164], v[74:75], v[0:1], v[72:73]
	ds_load_b128 v[72:75], v191 offset:19712
	ds_load_b128 v[113:116], v191 offset:16896
	s_waitcnt vmcnt(0) lgkmcnt(1)
	v_mul_f64 v[98:99], v[74:75], v[90:91]
	v_fma_f64 v[18:19], v[238:239], s[14:15], v[16:17]
	s_delay_alu instid0(VALU_DEP_2)
	v_fma_f64 v[165:166], v[72:73], v[88:89], -v[98:99]
	s_clause 0x1
	global_load_b128 v[100:103], v[96:97], off offset:288
	global_load_b128 v[96:99], v[96:97], off offset:304
	v_mul_f64 v[72:73], v[72:73], v[90:91]
	s_waitcnt vmcnt(0) lgkmcnt(0)
	s_waitcnt_vscnt null, 0x0
	s_barrier
	buffer_gl0_inv
	v_add_f64 v[244:245], v[161:162], v[165:166]
	v_add_f64 v[248:249], v[161:162], -v[165:166]
	v_fma_f64 v[167:168], v[74:75], v[88:89], v[72:73]
	s_delay_alu instid0(VALU_DEP_2) | instskip(NEXT) | instid1(VALU_DEP_2)
	v_mul_f64 v[252:253], v[248:249], s[22:23]
	v_add_f64 v[242:243], v[163:164], -v[167:168]
	v_add_f64 v[250:251], v[163:164], v[167:168]
	v_mul_f64 v[0:1], v[248:249], s[36:37]
	v_mul_f64 v[20:21], v[248:249], s[24:25]
	;; [unrolled: 1-line block ×5, first 2 shown]
	v_fma_f64 v[2:3], v[250:251], s[16:17], v[0:1]
	v_fma_f64 v[22:23], v[250:251], s[18:19], v[20:21]
	v_mul_f64 v[24:25], v[242:243], s[26:27]
	v_fma_f64 v[30:31], v[250:251], s[10:11], v[28:29]
	v_fma_f64 v[0:1], v[250:251], s[16:17], -v[0:1]
	s_delay_alu instid0(VALU_DEP_3) | instskip(SKIP_2) | instid1(VALU_DEP_1)
	v_fma_f64 v[26:27], v[244:245], s[10:11], -v[24:25]
	v_fma_f64 v[24:25], v[244:245], s[10:11], v[24:25]
	v_mul_f64 v[72:73], v[78:79], v[102:103]
	v_fma_f64 v[169:170], v[76:77], v[100:101], -v[72:73]
	v_mul_f64 v[72:73], v[76:77], v[102:103]
	s_delay_alu instid0(VALU_DEP_1) | instskip(SKIP_1) | instid1(VALU_DEP_1)
	v_fma_f64 v[171:172], v[78:79], v[100:101], v[72:73]
	v_mul_f64 v[72:73], v[115:116], v[98:99]
	v_fma_f64 v[173:174], v[113:114], v[96:97], -v[72:73]
	v_mul_f64 v[72:73], v[113:114], v[98:99]
	s_delay_alu instid0(VALU_DEP_2) | instskip(NEXT) | instid1(VALU_DEP_2)
	v_add_f64 v[202:203], v[169:170], v[173:174]
	v_fma_f64 v[175:176], v[115:116], v[96:97], v[72:73]
	v_add_f64 v[72:73], v[119:120], -v[143:144]
	v_add_f64 v[115:116], v[117:118], v[141:142]
	v_add_f64 v[199:200], v[169:170], -v[173:174]
	s_delay_alu instid0(VALU_DEP_4) | instskip(NEXT) | instid1(VALU_DEP_4)
	v_add_f64 v[254:255], v[171:172], -v[175:176]
	v_mul_f64 v[74:75], v[72:73], s[24:25]
	v_mul_f64 v[76:77], v[72:73], s[34:35]
	;; [unrolled: 1-line block ×5, first 2 shown]
	v_add_f64 v[204:205], v[171:172], v[175:176]
	v_mul_f64 v[206:207], v[199:200], s[26:27]
	v_mul_f64 v[197:198], v[254:255], s[26:27]
	v_fma_f64 v[121:122], v[115:116], s[18:19], -v[74:75]
	v_fma_f64 v[74:75], v[115:116], s[18:19], v[74:75]
	v_fma_f64 v[123:124], v[115:116], s[14:15], -v[76:77]
	v_fma_f64 v[76:77], v[115:116], s[14:15], v[76:77]
	;; [unrolled: 2-line block ×5, first 2 shown]
	v_add_f64 v[115:116], v[117:118], -v[141:142]
	v_mul_f64 v[4:5], v[254:255], s[28:29]
	v_mul_f64 v[32:33], v[254:255], s[30:31]
	v_add_f64 v[74:75], v[109:110], v[74:75]
	v_add_f64 v[119:120], v[109:110], v[123:124]
	;; [unrolled: 1-line block ×6, first 2 shown]
	v_mul_f64 v[131:132], v[115:116], s[24:25]
	v_mul_f64 v[133:134], v[115:116], s[34:35]
	v_mul_f64 v[135:136], v[115:116], s[20:21]
	v_mul_f64 v[137:138], v[115:116], s[22:23]
	v_mul_f64 v[115:116], v[115:116], s[26:27]
	v_fma_f64 v[6:7], v[202:203], s[18:19], -v[4:5]
	v_fma_f64 v[34:35], v[202:203], s[14:15], -v[32:33]
	v_fma_f64 v[4:5], v[202:203], s[18:19], v[4:5]
	v_fma_f64 v[189:190], v[139:140], s[18:19], -v[131:132]
	v_fma_f64 v[131:132], v[139:140], s[18:19], v[131:132]
	v_fma_f64 v[177:178], v[139:140], s[14:15], v[133:134]
	v_fma_f64 v[133:134], v[139:140], s[14:15], -v[133:134]
	v_fma_f64 v[179:180], v[139:140], s[16:17], v[135:136]
	v_fma_f64 v[135:136], v[139:140], s[16:17], -v[135:136]
	;; [unrolled: 2-line block ×4, first 2 shown]
	v_add_f64 v[139:140], v[109:110], v[121:122]
	v_add_f64 v[117:118], v[111:112], v[189:190]
	;; [unrolled: 1-line block ×3, first 2 shown]
	v_add_f64 v[131:132], v[147:148], -v[149:150]
	v_add_f64 v[121:122], v[111:112], v[177:178]
	v_add_f64 v[177:178], v[109:110], v[76:77]
	;; [unrolled: 1-line block ×5, first 2 shown]
	v_fma_f64 v[78:79], v[228:229], s[12:13], v[185:186]
	v_add_f64 v[181:182], v[111:112], v[181:182]
	v_add_f64 v[187:188], v[111:112], v[187:188]
	;; [unrolled: 1-line block ×6, first 2 shown]
	v_mul_f64 v[224:225], v[131:132], s[34:35]
	v_mul_f64 v[208:209], v[131:132], s[22:23]
	v_add_f64 v[10:11], v[10:11], v[125:126]
	v_mul_f64 v[125:126], v[226:227], s[36:37]
	v_add_f64 v[78:79], v[78:79], v[121:122]
	v_mul_f64 v[121:122], v[226:227], s[28:29]
	v_mul_f64 v[226:227], v[254:255], s[20:21]
	v_add_f64 v[8:9], v[8:9], v[135:136]
	v_fma_f64 v[72:73], v[222:223], s[14:15], v[224:225]
	v_add_f64 v[10:11], v[18:19], v[10:11]
	v_mul_f64 v[18:19], v[242:243], s[24:25]
	v_fma_f64 v[115:116], v[228:229], s[16:17], v[125:126]
	s_delay_alu instid0(VALU_DEP_4)
	v_add_f64 v[72:73], v[72:73], v[74:75]
	v_fma_f64 v[74:75], v[228:229], s[14:15], -v[230:231]
	v_add_f64 v[10:11], v[22:23], v[10:11]
	v_mul_f64 v[22:23], v[254:255], s[22:23]
	v_add_f64 v[115:116], v[115:116], v[181:182]
	v_mul_f64 v[181:182], v[236:237], s[24:25]
	v_add_f64 v[74:75], v[74:75], v[117:118]
	v_add_f64 v[117:118], v[155:156], -v[157:158]
	s_delay_alu instid0(VALU_DEP_1) | instskip(SKIP_2) | instid1(VALU_DEP_3)
	v_mul_f64 v[234:235], v[117:118], s[20:21]
	v_mul_f64 v[183:184], v[117:118], s[38:39]
	;; [unrolled: 1-line block ×3, first 2 shown]
	v_fma_f64 v[76:77], v[232:233], s[16:17], v[234:235]
	s_delay_alu instid0(VALU_DEP_3) | instskip(NEXT) | instid1(VALU_DEP_3)
	v_fma_f64 v[109:110], v[232:233], s[10:11], -v[183:184]
	v_fma_f64 v[14:15], v[232:233], s[14:15], -v[12:13]
	s_delay_alu instid0(VALU_DEP_3) | instskip(SKIP_1) | instid1(VALU_DEP_1)
	v_add_f64 v[72:73], v[76:77], v[72:73]
	v_fma_f64 v[76:77], v[238:239], s[16:17], -v[240:241]
	v_add_f64 v[74:75], v[76:77], v[74:75]
	v_fma_f64 v[76:77], v[244:245], s[12:13], v[246:247]
	s_delay_alu instid0(VALU_DEP_1) | instskip(SKIP_1) | instid1(VALU_DEP_1)
	v_add_f64 v[72:73], v[76:77], v[72:73]
	v_fma_f64 v[76:77], v[250:251], s[12:13], -v[252:253]
	v_add_f64 v[74:75], v[76:77], v[74:75]
	v_fma_f64 v[76:77], v[202:203], s[10:11], v[197:198]
	s_delay_alu instid0(VALU_DEP_1) | instskip(SKIP_1) | instid1(VALU_DEP_1)
	v_add_f64 v[72:73], v[76:77], v[72:73]
	v_fma_f64 v[76:77], v[204:205], s[10:11], -v[206:207]
	v_add_f64 v[74:75], v[76:77], v[74:75]
	v_fma_f64 v[76:77], v[222:223], s[12:13], -v[208:209]
	s_delay_alu instid0(VALU_DEP_1) | instskip(NEXT) | instid1(VALU_DEP_1)
	v_add_f64 v[76:77], v[76:77], v[119:120]
	v_add_f64 v[76:77], v[109:110], v[76:77]
	v_fma_f64 v[109:110], v[238:239], s[10:11], v[195:196]
	s_delay_alu instid0(VALU_DEP_1) | instskip(SKIP_1) | instid1(VALU_DEP_2)
	v_add_f64 v[78:79], v[109:110], v[78:79]
	v_fma_f64 v[109:110], v[244:245], s[16:17], -v[210:211]
	v_add_f64 v[2:3], v[2:3], v[78:79]
	s_delay_alu instid0(VALU_DEP_2) | instskip(NEXT) | instid1(VALU_DEP_1)
	v_add_f64 v[76:77], v[109:110], v[76:77]
	v_add_f64 v[76:77], v[6:7], v[76:77]
	v_mul_f64 v[6:7], v[199:200], s[28:29]
	s_delay_alu instid0(VALU_DEP_1) | instskip(SKIP_1) | instid1(VALU_DEP_2)
	v_fma_f64 v[78:79], v[204:205], s[18:19], v[6:7]
	v_fma_f64 v[6:7], v[204:205], s[18:19], -v[6:7]
	v_add_f64 v[78:79], v[78:79], v[2:3]
	v_mul_f64 v[2:3], v[131:132], s[38:39]
	s_delay_alu instid0(VALU_DEP_1) | instskip(SKIP_1) | instid1(VALU_DEP_2)
	v_fma_f64 v[109:110], v[222:223], s[10:11], -v[2:3]
	v_fma_f64 v[2:3], v[222:223], s[10:11], v[2:3]
	v_add_f64 v[109:110], v[109:110], v[123:124]
	v_mul_f64 v[123:124], v[117:118], s[22:23]
	s_delay_alu instid0(VALU_DEP_3) | instskip(NEXT) | instid1(VALU_DEP_3)
	v_add_f64 v[2:3], v[2:3], v[179:180]
	v_add_f64 v[14:15], v[14:15], v[109:110]
	v_fma_f64 v[109:110], v[244:245], s[18:19], -v[18:19]
	s_delay_alu instid0(VALU_DEP_1) | instskip(SKIP_1) | instid1(VALU_DEP_1)
	v_add_f64 v[14:15], v[109:110], v[14:15]
	v_fma_f64 v[109:110], v[202:203], s[12:13], -v[22:23]
	v_add_f64 v[109:110], v[109:110], v[14:15]
	v_mul_f64 v[14:15], v[199:200], s[22:23]
	s_delay_alu instid0(VALU_DEP_1) | instskip(NEXT) | instid1(VALU_DEP_1)
	v_fma_f64 v[111:112], v[204:205], s[12:13], v[14:15]
	v_add_f64 v[111:112], v[111:112], v[10:11]
	v_mul_f64 v[10:11], v[131:132], s[36:37]
	s_delay_alu instid0(VALU_DEP_1) | instskip(SKIP_1) | instid1(VALU_DEP_2)
	v_fma_f64 v[113:114], v[222:223], s[16:17], -v[10:11]
	v_fma_f64 v[10:11], v[222:223], s[16:17], v[10:11]
	v_add_f64 v[113:114], v[113:114], v[127:128]
	v_mul_f64 v[127:128], v[117:118], s[24:25]
	v_fma_f64 v[117:118], v[232:233], s[12:13], -v[123:124]
	s_delay_alu instid0(VALU_DEP_4) | instskip(NEXT) | instid1(VALU_DEP_3)
	v_add_f64 v[10:11], v[10:11], v[189:190]
	v_fma_f64 v[119:120], v[232:233], s[18:19], -v[127:128]
	s_delay_alu instid0(VALU_DEP_1) | instskip(SKIP_1) | instid1(VALU_DEP_2)
	v_add_f64 v[113:114], v[119:120], v[113:114]
	v_fma_f64 v[119:120], v[238:239], s[18:19], v[181:182]
	v_add_f64 v[26:27], v[26:27], v[113:114]
	s_delay_alu instid0(VALU_DEP_2) | instskip(SKIP_1) | instid1(VALU_DEP_3)
	v_add_f64 v[115:116], v[119:120], v[115:116]
	v_fma_f64 v[119:120], v[228:229], s[18:19], v[121:122]
	v_add_f64 v[113:114], v[34:35], v[26:27]
	v_mul_f64 v[26:27], v[199:200], s[30:31]
	s_delay_alu instid0(VALU_DEP_4) | instskip(NEXT) | instid1(VALU_DEP_4)
	v_add_f64 v[30:31], v[30:31], v[115:116]
	v_add_f64 v[119:120], v[119:120], v[187:188]
	v_mul_f64 v[187:188], v[248:249], s[30:31]
	v_mul_f64 v[199:200], v[199:200], s[20:21]
	v_fma_f64 v[34:35], v[204:205], s[14:15], v[26:27]
	v_fma_f64 v[26:27], v[204:205], s[14:15], -v[26:27]
	s_delay_alu instid0(VALU_DEP_2) | instskip(SKIP_2) | instid1(VALU_DEP_2)
	v_add_f64 v[115:116], v[34:35], v[30:31]
	v_mul_f64 v[30:31], v[131:132], s[28:29]
	v_mul_f64 v[131:132], v[242:243], s[30:31]
	v_fma_f64 v[34:35], v[222:223], s[18:19], -v[30:31]
	v_fma_f64 v[30:31], v[222:223], s[18:19], v[30:31]
	s_delay_alu instid0(VALU_DEP_2) | instskip(SKIP_1) | instid1(VALU_DEP_3)
	v_add_f64 v[34:35], v[34:35], v[129:130]
	v_mul_f64 v[129:130], v[236:237], s[22:23]
	v_add_f64 v[30:31], v[30:31], v[216:217]
	s_delay_alu instid0(VALU_DEP_3) | instskip(NEXT) | instid1(VALU_DEP_3)
	v_add_f64 v[34:35], v[117:118], v[34:35]
	v_fma_f64 v[117:118], v[238:239], s[12:13], v[129:130]
	s_delay_alu instid0(VALU_DEP_1) | instskip(SKIP_1) | instid1(VALU_DEP_1)
	v_add_f64 v[117:118], v[117:118], v[119:120]
	v_fma_f64 v[119:120], v[244:245], s[14:15], -v[131:132]
	v_add_f64 v[34:35], v[119:120], v[34:35]
	v_fma_f64 v[119:120], v[250:251], s[14:15], v[187:188]
	s_delay_alu instid0(VALU_DEP_1) | instskip(SKIP_1) | instid1(VALU_DEP_1)
	v_add_f64 v[119:120], v[119:120], v[117:118]
	v_fma_f64 v[117:118], v[202:203], s[16:17], -v[226:227]
	v_add_f64 v[117:118], v[117:118], v[34:35]
	v_fma_f64 v[34:35], v[204:205], s[16:17], v[199:200]
	s_delay_alu instid0(VALU_DEP_1) | instskip(SKIP_3) | instid1(VALU_DEP_3)
	v_add_f64 v[119:120], v[34:35], v[119:120]
	v_fma_f64 v[34:35], v[228:229], s[18:19], -v[121:122]
	v_fma_f64 v[121:122], v[232:233], s[12:13], v[123:124]
	v_fma_f64 v[123:124], v[204:205], s[16:17], -v[199:200]
	v_add_f64 v[34:35], v[34:35], v[218:219]
	s_delay_alu instid0(VALU_DEP_3) | instskip(SKIP_1) | instid1(VALU_DEP_1)
	v_add_f64 v[30:31], v[121:122], v[30:31]
	v_fma_f64 v[121:122], v[238:239], s[12:13], -v[129:130]
	v_add_f64 v[34:35], v[121:122], v[34:35]
	v_fma_f64 v[121:122], v[244:245], s[14:15], v[131:132]
	s_delay_alu instid0(VALU_DEP_1) | instskip(SKIP_1) | instid1(VALU_DEP_1)
	v_add_f64 v[30:31], v[121:122], v[30:31]
	v_fma_f64 v[121:122], v[250:251], s[14:15], -v[187:188]
	v_add_f64 v[34:35], v[121:122], v[34:35]
	v_fma_f64 v[121:122], v[202:203], s[16:17], v[226:227]
	s_delay_alu instid0(VALU_DEP_2) | instskip(SKIP_1) | instid1(VALU_DEP_3)
	v_add_f64 v[123:124], v[123:124], v[34:35]
	v_fma_f64 v[34:35], v[232:233], s[18:19], v[127:128]
	v_add_f64 v[121:122], v[121:122], v[30:31]
	v_fma_f64 v[30:31], v[228:229], s[16:17], -v[125:126]
	s_delay_alu instid0(VALU_DEP_3) | instskip(SKIP_1) | instid1(VALU_DEP_3)
	v_add_f64 v[10:11], v[34:35], v[10:11]
	v_fma_f64 v[34:35], v[238:239], s[18:19], -v[181:182]
	v_add_f64 v[30:31], v[30:31], v[137:138]
	s_delay_alu instid0(VALU_DEP_3) | instskip(SKIP_2) | instid1(VALU_DEP_4)
	v_add_f64 v[10:11], v[24:25], v[10:11]
	v_fma_f64 v[24:25], v[250:251], s[10:11], -v[28:29]
	v_fma_f64 v[28:29], v[202:203], s[14:15], v[32:33]
	v_add_f64 v[30:31], v[34:35], v[30:31]
	s_delay_alu instid0(VALU_DEP_2) | instskip(SKIP_2) | instid1(VALU_DEP_4)
	v_add_f64 v[125:126], v[28:29], v[10:11]
	v_fma_f64 v[10:11], v[232:233], s[14:15], v[12:13]
	v_fma_f64 v[12:13], v[204:205], s[12:13], -v[14:15]
	v_add_f64 v[24:25], v[24:25], v[30:31]
	s_delay_alu instid0(VALU_DEP_3) | instskip(SKIP_1) | instid1(VALU_DEP_3)
	v_add_f64 v[2:3], v[10:11], v[2:3]
	v_fma_f64 v[10:11], v[238:239], s[14:15], -v[16:17]
	v_add_f64 v[127:128], v[26:27], v[24:25]
	s_delay_alu instid0(VALU_DEP_2) | instskip(SKIP_1) | instid1(VALU_DEP_1)
	v_add_f64 v[8:9], v[10:11], v[8:9]
	v_fma_f64 v[10:11], v[244:245], s[18:19], v[18:19]
	v_add_f64 v[2:3], v[10:11], v[2:3]
	v_fma_f64 v[10:11], v[250:251], s[18:19], -v[20:21]
	s_delay_alu instid0(VALU_DEP_1) | instskip(SKIP_1) | instid1(VALU_DEP_2)
	v_add_f64 v[8:9], v[10:11], v[8:9]
	v_fma_f64 v[10:11], v[202:203], s[12:13], v[22:23]
	v_add_f64 v[131:132], v[12:13], v[8:9]
	s_delay_alu instid0(VALU_DEP_2) | instskip(SKIP_3) | instid1(VALU_DEP_3)
	v_add_f64 v[129:130], v[10:11], v[2:3]
	v_fma_f64 v[2:3], v[222:223], s[12:13], v[208:209]
	v_fma_f64 v[8:9], v[228:229], s[12:13], -v[185:186]
	v_fma_f64 v[10:11], v[232:233], s[10:11], v[183:184]
	v_add_f64 v[2:3], v[2:3], v[177:178]
	s_delay_alu instid0(VALU_DEP_3) | instskip(NEXT) | instid1(VALU_DEP_2)
	v_add_f64 v[8:9], v[8:9], v[133:134]
	v_add_f64 v[2:3], v[10:11], v[2:3]
	v_fma_f64 v[10:11], v[238:239], s[10:11], -v[195:196]
	s_delay_alu instid0(VALU_DEP_1) | instskip(SKIP_1) | instid1(VALU_DEP_2)
	v_add_f64 v[8:9], v[10:11], v[8:9]
	v_fma_f64 v[10:11], v[244:245], s[16:17], v[210:211]
	v_add_f64 v[0:1], v[0:1], v[8:9]
	s_delay_alu instid0(VALU_DEP_2) | instskip(SKIP_2) | instid1(VALU_DEP_4)
	v_add_f64 v[2:3], v[10:11], v[2:3]
	v_fma_f64 v[8:9], v[244:245], s[12:13], -v[246:247]
	v_fma_f64 v[10:11], v[250:251], s[12:13], v[252:253]
	v_add_f64 v[135:136], v[6:7], v[0:1]
	s_delay_alu instid0(VALU_DEP_4) | instskip(SKIP_4) | instid1(VALU_DEP_4)
	v_add_f64 v[133:134], v[4:5], v[2:3]
	v_fma_f64 v[0:1], v[222:223], s[14:15], -v[224:225]
	v_fma_f64 v[2:3], v[228:229], s[14:15], v[230:231]
	v_fma_f64 v[4:5], v[232:233], s[16:17], -v[234:235]
	v_fma_f64 v[6:7], v[238:239], s[16:17], v[240:241]
	v_add_f64 v[0:1], v[0:1], v[139:140]
	s_delay_alu instid0(VALU_DEP_4) | instskip(NEXT) | instid1(VALU_DEP_2)
	v_add_f64 v[2:3], v[2:3], v[220:221]
	v_add_f64 v[0:1], v[4:5], v[0:1]
	s_delay_alu instid0(VALU_DEP_2) | instskip(SKIP_2) | instid1(VALU_DEP_4)
	v_add_f64 v[2:3], v[6:7], v[2:3]
	v_fma_f64 v[4:5], v[202:203], s[10:11], -v[197:198]
	v_fma_f64 v[6:7], v[204:205], s[10:11], v[206:207]
	v_add_f64 v[0:1], v[8:9], v[0:1]
	s_delay_alu instid0(VALU_DEP_4) | instskip(NEXT) | instid1(VALU_DEP_2)
	v_add_f64 v[2:3], v[10:11], v[2:3]
	v_add_f64 v[137:138], v[4:5], v[0:1]
	s_delay_alu instid0(VALU_DEP_2) | instskip(SKIP_2) | instid1(VALU_DEP_2)
	v_add_f64 v[139:140], v[6:7], v[2:3]
	v_add_f64 v[0:1], v[212:213], v[145:146]
	;; [unrolled: 1-line block ×4, first 2 shown]
	s_delay_alu instid0(VALU_DEP_2) | instskip(NEXT) | instid1(VALU_DEP_2)
	v_add_f64 v[2:3], v[2:3], v[155:156]
	v_add_f64 v[0:1], v[0:1], v[161:162]
	s_delay_alu instid0(VALU_DEP_2) | instskip(NEXT) | instid1(VALU_DEP_2)
	v_add_f64 v[2:3], v[2:3], v[163:164]
	v_add_f64 v[0:1], v[0:1], v[169:170]
	;; [unrolled: 3-line block ×7, first 2 shown]
	s_delay_alu instid0(VALU_DEP_2) | instskip(SKIP_1) | instid1(VALU_DEP_1)
	v_add_f64 v[143:144], v[2:3], v[143:144]
	v_lshrrev_b32_e32 v0, 4, v192
	v_mul_u32_u24_e32 v0, 0xb0, v0
	s_delay_alu instid0(VALU_DEP_1) | instskip(NEXT) | instid1(VALU_DEP_1)
	v_or_b32_e32 v0, v0, v108
	v_lshlrev_b32_e32 v212, 4, v0
	ds_store_b128 v212, v[76:79] offset:512
	ds_store_b128 v212, v[109:112] offset:768
	;; [unrolled: 1-line block ×10, first 2 shown]
	ds_store_b128 v212, v[141:144]
	v_mad_u64_u32 v[132:133], null, 0xa0, v192, s[2:3]
	s_waitcnt lgkmcnt(0)
	s_barrier
	buffer_gl0_inv
	ds_load_b128 v[108:111], v191 offset:2816
	ds_load_b128 v[144:147], v191
	s_clause 0x1
	global_load_b128 v[4:7], v[132:133], off offset:2784
	global_load_b128 v[8:11], v[132:133], off offset:2800
	s_waitcnt vmcnt(1) lgkmcnt(1)
	v_mul_f64 v[0:1], v[110:111], v[6:7]
	v_mul_f64 v[2:3], v[108:109], v[6:7]
	scratch_store_b128 off, v[4:7], off offset:304 ; 16-byte Folded Spill
	v_fma_f64 v[0:1], v[108:109], v[4:5], -v[0:1]
	v_fma_f64 v[2:3], v[110:111], v[4:5], v[2:3]
	s_clause 0x1
	global_load_b128 v[112:115], v[132:133], off offset:2928
	global_load_b128 v[108:111], v[132:133], off offset:2912
	ds_load_b128 v[116:119], v191 offset:28160
	s_waitcnt lgkmcnt(1)
	v_add_f64 v[182:183], v[146:147], v[2:3]
	s_waitcnt vmcnt(1) lgkmcnt(0)
	v_mul_f64 v[4:5], v[116:117], v[114:115]
	s_delay_alu instid0(VALU_DEP_1) | instskip(SKIP_1) | instid1(VALU_DEP_2)
	v_fma_f64 v[140:141], v[118:119], v[112:113], v[4:5]
	v_mul_f64 v[4:5], v[118:119], v[114:115]
	v_add_f64 v[34:35], v[2:3], v[140:141]
	s_delay_alu instid0(VALU_DEP_2)
	v_fma_f64 v[142:143], v[116:117], v[112:113], -v[4:5]
	ds_load_b128 v[116:119], v191 offset:5632
	ds_load_b128 v[124:127], v191 offset:8448
	scratch_store_b128 off, v[8:11], off offset:320 ; 16-byte Folded Spill
	s_waitcnt lgkmcnt(1)
	v_mul_f64 v[4:5], v[118:119], v[10:11]
	v_add_f64 v[14:15], v[0:1], v[142:143]
	s_delay_alu instid0(VALU_DEP_2) | instskip(SKIP_1) | instid1(VALU_DEP_1)
	v_fma_f64 v[152:153], v[116:117], v[8:9], -v[4:5]
	v_mul_f64 v[4:5], v[116:117], v[10:11]
	v_fma_f64 v[154:155], v[118:119], v[8:9], v[4:5]
	ds_load_b128 v[116:119], v191 offset:25344
	ds_load_b128 v[134:137], v191 offset:22528
	s_waitcnt vmcnt(0) lgkmcnt(1)
	v_mul_f64 v[4:5], v[116:117], v[110:111]
	s_delay_alu instid0(VALU_DEP_1) | instskip(SKIP_1) | instid1(VALU_DEP_1)
	v_fma_f64 v[148:149], v[118:119], v[108:109], v[4:5]
	v_mul_f64 v[4:5], v[118:119], v[110:111]
	v_fma_f64 v[150:151], v[116:117], v[108:109], -v[4:5]
	s_clause 0x1
	global_load_b128 v[120:123], v[132:133], off offset:2816
	global_load_b128 v[116:119], v[132:133], off offset:2832
	s_waitcnt vmcnt(1)
	v_mul_f64 v[4:5], v[126:127], v[122:123]
	s_delay_alu instid0(VALU_DEP_1) | instskip(SKIP_1) | instid1(VALU_DEP_1)
	v_fma_f64 v[160:161], v[124:125], v[120:121], -v[4:5]
	v_mul_f64 v[4:5], v[124:125], v[122:123]
	v_fma_f64 v[162:163], v[126:127], v[120:121], v[4:5]
	s_clause 0x1
	global_load_b128 v[128:131], v[132:133], off offset:2896
	global_load_b128 v[124:127], v[132:133], off offset:2880
	s_waitcnt vmcnt(1) lgkmcnt(0)
	v_mul_f64 v[4:5], v[134:135], v[130:131]
	s_delay_alu instid0(VALU_DEP_1) | instskip(SKIP_1) | instid1(VALU_DEP_2)
	v_fma_f64 v[156:157], v[136:137], v[128:129], v[4:5]
	v_mul_f64 v[4:5], v[136:137], v[130:131]
	v_add_f64 v[206:207], v[162:163], -v[156:157]
	s_delay_alu instid0(VALU_DEP_2)
	v_fma_f64 v[158:159], v[134:135], v[128:129], -v[4:5]
	ds_load_b128 v[134:137], v191 offset:11264
	ds_load_b128 v[170:173], v191 offset:14080
	v_add_f64 v[245:246], v[162:163], v[156:157]
	s_waitcnt lgkmcnt(1)
	v_mul_f64 v[4:5], v[136:137], v[118:119]
	v_mul_f64 v[210:211], v[206:207], s[20:21]
	v_add_f64 v[208:209], v[160:161], v[158:159]
	v_add_f64 v[225:226], v[160:161], -v[158:159]
	v_mul_f64 v[239:240], v[206:207], s[30:31]
	v_mul_f64 v[186:187], v[206:207], s[24:25]
	v_fma_f64 v[164:165], v[134:135], v[116:117], -v[4:5]
	v_mul_f64 v[4:5], v[134:135], v[118:119]
	v_mul_f64 v[247:248], v[225:226], s[20:21]
	;; [unrolled: 1-line block ×4, first 2 shown]
	v_fma_f64 v[188:189], v[208:209], s[18:19], -v[186:187]
	v_fma_f64 v[166:167], v[136:137], v[116:117], v[4:5]
	s_clause 0x1
	global_load_b128 v[136:139], v[132:133], off offset:2848
	global_load_b128 v[132:135], v[132:133], off offset:2864
	ds_load_b128 v[174:177], v191 offset:16896
	ds_load_b128 v[178:181], v191 offset:19712
	v_fma_f64 v[62:63], v[245:246], s[10:11], v[60:61]
	v_fma_f64 v[70:71], v[245:246], s[14:15], v[68:69]
	s_waitcnt vmcnt(1) lgkmcnt(2)
	v_mul_f64 v[4:5], v[172:173], v[138:139]
	s_delay_alu instid0(VALU_DEP_1) | instskip(SKIP_1) | instid1(VALU_DEP_1)
	v_fma_f64 v[168:169], v[170:171], v[136:137], -v[4:5]
	v_mul_f64 v[4:5], v[170:171], v[138:139]
	v_fma_f64 v[170:171], v[172:173], v[136:137], v[4:5]
	s_waitcnt vmcnt(0) lgkmcnt(1)
	v_mul_f64 v[4:5], v[176:177], v[134:135]
	s_delay_alu instid0(VALU_DEP_1) | instskip(SKIP_1) | instid1(VALU_DEP_2)
	v_fma_f64 v[172:173], v[174:175], v[132:133], -v[4:5]
	v_mul_f64 v[4:5], v[174:175], v[134:135]
	v_add_f64 v[104:105], v[168:169], v[172:173]
	s_delay_alu instid0(VALU_DEP_2) | instskip(SKIP_2) | instid1(VALU_DEP_1)
	v_fma_f64 v[174:175], v[176:177], v[132:133], v[4:5]
	s_waitcnt lgkmcnt(0)
	v_mul_f64 v[4:5], v[180:181], v[126:127]
	v_fma_f64 v[176:177], v[178:179], v[124:125], -v[4:5]
	v_mul_f64 v[4:5], v[178:179], v[126:127]
	s_delay_alu instid0(VALU_DEP_2) | instskip(NEXT) | instid1(VALU_DEP_2)
	v_add_f64 v[229:230], v[164:165], -v[176:177]
	v_fma_f64 v[178:179], v[180:181], v[124:125], v[4:5]
	v_add_f64 v[4:5], v[2:3], -v[140:141]
	v_add_f64 v[249:250], v[164:165], v[176:177]
	s_delay_alu instid0(VALU_DEP_4) | instskip(NEXT) | instid1(VALU_DEP_4)
	v_mul_f64 v[36:37], v[229:230], s[22:23]
	v_add_f64 v[253:254], v[166:167], v[178:179]
	s_delay_alu instid0(VALU_DEP_4)
	v_mul_f64 v[6:7], v[4:5], s[24:25]
	v_mul_f64 v[8:9], v[4:5], s[34:35]
	v_mul_f64 v[10:11], v[4:5], s[20:21]
	v_mul_f64 v[12:13], v[4:5], s[22:23]
	v_mul_f64 v[4:5], v[4:5], s[26:27]
	v_add_f64 v[227:228], v[166:167], -v[178:179]
	v_mul_f64 v[64:65], v[229:230], s[36:37]
	v_mul_f64 v[76:77], v[229:230], s[26:27]
	v_fma_f64 v[38:39], v[253:254], s[12:13], v[36:37]
	v_fma_f64 v[16:17], v[14:15], s[18:19], -v[6:7]
	v_fma_f64 v[6:7], v[14:15], s[18:19], v[6:7]
	v_fma_f64 v[18:19], v[14:15], s[14:15], -v[8:9]
	;; [unrolled: 2-line block ×5, first 2 shown]
	v_fma_f64 v[4:5], v[14:15], s[10:11], v[4:5]
	v_add_f64 v[14:15], v[0:1], -v[142:143]
	v_add_f64 v[0:1], v[144:145], v[0:1]
	v_mul_f64 v[251:252], v[227:228], s[22:23]
	v_fma_f64 v[66:67], v[253:254], s[16:17], v[64:65]
	v_fma_f64 v[78:79], v[253:254], s[10:11], v[76:77]
	v_mul_f64 v[80:81], v[227:228], s[30:31]
	v_add_f64 v[74:75], v[144:145], v[6:7]
	v_add_f64 v[6:7], v[144:145], v[18:19]
	;; [unrolled: 1-line block ×9, first 2 shown]
	v_mul_f64 v[26:27], v[14:15], s[24:25]
	v_mul_f64 v[28:29], v[14:15], s[34:35]
	;; [unrolled: 1-line block ×5, first 2 shown]
	scratch_store_b64 off, v[0:1], off offset:352 ; 8-byte Folded Spill
	v_add_f64 v[0:1], v[144:145], v[16:17]
	v_add_f64 v[18:19], v[170:171], v[174:175]
	v_fma_f64 v[82:83], v[249:250], s[14:15], -v[80:81]
	v_fma_f64 v[184:185], v[34:35], s[18:19], v[26:27]
	v_fma_f64 v[26:27], v[34:35], s[18:19], -v[26:27]
	v_fma_f64 v[195:196], v[34:35], s[14:15], v[28:29]
	;; [unrolled: 2-line block ×4, first 2 shown]
	v_fma_f64 v[202:203], v[34:35], s[10:11], v[14:15]
	v_fma_f64 v[32:33], v[34:35], s[12:13], -v[32:33]
	v_fma_f64 v[14:15], v[34:35], s[10:11], -v[14:15]
	v_add_f64 v[2:3], v[146:147], v[184:185]
	v_add_f64 v[184:185], v[154:155], -v[148:149]
	v_add_f64 v[180:181], v[146:147], v[26:27]
	v_add_f64 v[16:17], v[146:147], v[195:196]
	;; [unrolled: 1-line block ×7, first 2 shown]
	v_add_f64 v[199:200], v[152:153], -v[150:151]
	v_add_f64 v[34:35], v[146:147], v[202:203]
	v_add_f64 v[202:203], v[154:155], v[148:149]
	;; [unrolled: 1-line block ×4, first 2 shown]
	v_mul_f64 v[32:33], v[229:230], s[24:25]
	v_mul_f64 v[14:15], v[227:228], s[26:27]
	;; [unrolled: 1-line block ×7, first 2 shown]
	v_fma_f64 v[144:145], v[195:196], s[14:15], -v[197:198]
	s_delay_alu instid0(VALU_DEP_4) | instskip(NEXT) | instid1(VALU_DEP_2)
	v_fma_f64 v[58:59], v[202:203], s[12:13], v[56:57]
	v_add_f64 v[0:1], v[144:145], v[0:1]
	v_fma_f64 v[144:145], v[202:203], s[14:15], v[204:205]
	s_delay_alu instid0(VALU_DEP_3) | instskip(SKIP_1) | instid1(VALU_DEP_3)
	v_add_f64 v[16:17], v[58:59], v[16:17]
	v_mul_f64 v[58:59], v[206:207], s[38:39]
	v_add_f64 v[2:3], v[144:145], v[2:3]
	v_fma_f64 v[144:145], v[208:209], s[16:17], -v[210:211]
	s_delay_alu instid0(VALU_DEP_4) | instskip(SKIP_1) | instid1(VALU_DEP_3)
	v_add_f64 v[16:17], v[62:63], v[16:17]
	v_mul_f64 v[62:63], v[227:228], s[36:37]
	v_add_f64 v[0:1], v[144:145], v[0:1]
	v_fma_f64 v[144:145], v[245:246], s[16:17], v[247:248]
	s_delay_alu instid0(VALU_DEP_4) | instskip(NEXT) | instid1(VALU_DEP_2)
	v_add_f64 v[16:17], v[66:67], v[16:17]
	v_add_f64 v[2:3], v[144:145], v[2:3]
	v_fma_f64 v[144:145], v[249:250], s[12:13], -v[251:252]
	s_delay_alu instid0(VALU_DEP_2) | instskip(SKIP_1) | instid1(VALU_DEP_3)
	v_add_f64 v[2:3], v[38:39], v[2:3]
	v_add_f64 v[38:39], v[170:171], -v[174:175]
	v_add_f64 v[0:1], v[144:145], v[0:1]
	s_delay_alu instid0(VALU_DEP_2) | instskip(SKIP_2) | instid1(VALU_DEP_3)
	v_mul_f64 v[106:107], v[38:39], s[26:27]
	v_mul_f64 v[66:67], v[38:39], s[28:29]
	;; [unrolled: 1-line block ×3, first 2 shown]
	v_fma_f64 v[144:145], v[104:105], s[10:11], -v[106:107]
	s_delay_alu instid0(VALU_DEP_1) | instskip(SKIP_1) | instid1(VALU_DEP_1)
	v_add_f64 v[144:145], v[144:145], v[0:1]
	v_add_f64 v[0:1], v[168:169], -v[172:173]
	v_mul_f64 v[8:9], v[0:1], s[26:27]
	s_delay_alu instid0(VALU_DEP_1) | instskip(NEXT) | instid1(VALU_DEP_1)
	v_fma_f64 v[146:147], v[18:19], s[10:11], v[8:9]
	v_add_f64 v[146:147], v[146:147], v[2:3]
	v_mul_f64 v[2:3], v[184:185], s[22:23]
	s_delay_alu instid0(VALU_DEP_1) | instskip(NEXT) | instid1(VALU_DEP_1)
	v_fma_f64 v[213:214], v[195:196], s[12:13], -v[2:3]
	v_add_f64 v[6:7], v[213:214], v[6:7]
	v_fma_f64 v[213:214], v[208:209], s[10:11], -v[58:59]
	s_delay_alu instid0(VALU_DEP_1) | instskip(SKIP_1) | instid1(VALU_DEP_1)
	v_add_f64 v[6:7], v[213:214], v[6:7]
	v_fma_f64 v[213:214], v[249:250], s[16:17], -v[62:63]
	v_add_f64 v[6:7], v[213:214], v[6:7]
	v_fma_f64 v[213:214], v[104:105], s[18:19], -v[66:67]
	s_delay_alu instid0(VALU_DEP_1) | instskip(SKIP_1) | instid1(VALU_DEP_1)
	v_add_f64 v[213:214], v[213:214], v[6:7]
	v_mul_f64 v[6:7], v[0:1], s[28:29]
	v_fma_f64 v[215:216], v[18:19], s[18:19], v[6:7]
	v_fma_f64 v[6:7], v[18:19], s[18:19], -v[6:7]
	s_delay_alu instid0(VALU_DEP_2) | instskip(SKIP_1) | instid1(VALU_DEP_1)
	v_add_f64 v[215:216], v[215:216], v[16:17]
	v_mul_f64 v[16:17], v[184:185], s[38:39]
	v_fma_f64 v[217:218], v[195:196], s[10:11], -v[16:17]
	s_delay_alu instid0(VALU_DEP_1) | instskip(SKIP_1) | instid1(VALU_DEP_1)
	v_add_f64 v[20:21], v[217:218], v[20:21]
	v_fma_f64 v[217:218], v[202:203], s[10:11], v[237:238]
	v_add_f64 v[26:27], v[217:218], v[26:27]
	v_fma_f64 v[217:218], v[208:209], s[14:15], -v[239:240]
	s_delay_alu instid0(VALU_DEP_2) | instskip(SKIP_1) | instid1(VALU_DEP_3)
	v_add_f64 v[26:27], v[70:71], v[26:27]
	v_mul_f64 v[70:71], v[227:228], s[24:25]
	v_add_f64 v[20:21], v[217:218], v[20:21]
	s_delay_alu instid0(VALU_DEP_2) | instskip(NEXT) | instid1(VALU_DEP_1)
	v_fma_f64 v[217:218], v[249:250], s[18:19], -v[70:71]
	v_add_f64 v[20:21], v[217:218], v[20:21]
	v_fma_f64 v[217:218], v[253:254], s[18:19], v[32:33]
	s_delay_alu instid0(VALU_DEP_1) | instskip(SKIP_1) | instid1(VALU_DEP_1)
	v_add_f64 v[26:27], v[217:218], v[26:27]
	v_fma_f64 v[217:218], v[104:105], s[12:13], -v[12:13]
	v_add_f64 v[217:218], v[217:218], v[20:21]
	v_mul_f64 v[20:21], v[0:1], s[22:23]
	s_delay_alu instid0(VALU_DEP_1) | instskip(NEXT) | instid1(VALU_DEP_1)
	v_fma_f64 v[219:220], v[18:19], s[12:13], v[20:21]
	v_add_f64 v[219:220], v[219:220], v[26:27]
	v_mul_f64 v[26:27], v[184:185], s[36:37]
	s_delay_alu instid0(VALU_DEP_1) | instskip(NEXT) | instid1(VALU_DEP_1)
	v_fma_f64 v[221:222], v[195:196], s[16:17], -v[26:27]
	v_add_f64 v[22:23], v[221:222], v[22:23]
	v_fma_f64 v[221:222], v[202:203], s[16:17], v[72:73]
	s_delay_alu instid0(VALU_DEP_2) | instskip(SKIP_1) | instid1(VALU_DEP_3)
	v_add_f64 v[22:23], v[188:189], v[22:23]
	v_mul_f64 v[188:189], v[225:226], s[24:25]
	v_add_f64 v[30:31], v[221:222], v[30:31]
	s_delay_alu instid0(VALU_DEP_2) | instskip(NEXT) | instid1(VALU_DEP_1)
	v_fma_f64 v[221:222], v[245:246], s[18:19], v[188:189]
	v_add_f64 v[30:31], v[221:222], v[30:31]
	v_fma_f64 v[221:222], v[249:250], s[10:11], -v[14:15]
	v_fma_f64 v[14:15], v[249:250], s[10:11], v[14:15]
	s_delay_alu instid0(VALU_DEP_3) | instskip(SKIP_1) | instid1(VALU_DEP_4)
	v_add_f64 v[30:31], v[78:79], v[30:31]
	v_mul_f64 v[78:79], v[38:39], s[30:31]
	v_add_f64 v[22:23], v[221:222], v[22:23]
	v_mul_f64 v[38:39], v[38:39], s[20:21]
	s_delay_alu instid0(VALU_DEP_3) | instskip(NEXT) | instid1(VALU_DEP_1)
	v_fma_f64 v[221:222], v[104:105], s[14:15], -v[78:79]
	v_add_f64 v[221:222], v[221:222], v[22:23]
	v_mul_f64 v[22:23], v[0:1], s[30:31]
	v_mul_f64 v[0:1], v[0:1], s[20:21]
	s_delay_alu instid0(VALU_DEP_2) | instskip(SKIP_1) | instid1(VALU_DEP_2)
	v_fma_f64 v[223:224], v[18:19], s[14:15], v[22:23]
	v_fma_f64 v[22:23], v[18:19], s[14:15], -v[22:23]
	v_add_f64 v[223:224], v[223:224], v[30:31]
	v_mul_f64 v[30:31], v[184:185], s[28:29]
	s_delay_alu instid0(VALU_DEP_1) | instskip(NEXT) | instid1(VALU_DEP_1)
	v_fma_f64 v[184:185], v[195:196], s[18:19], -v[30:31]
	v_add_f64 v[24:25], v[184:185], v[24:25]
	v_mul_f64 v[184:185], v[199:200], s[28:29]
	s_delay_alu instid0(VALU_DEP_1) | instskip(NEXT) | instid1(VALU_DEP_1)
	v_fma_f64 v[199:200], v[202:203], s[18:19], v[184:185]
	v_add_f64 v[34:35], v[199:200], v[34:35]
	v_mul_f64 v[199:200], v[206:207], s[22:23]
	s_delay_alu instid0(VALU_DEP_1) | instskip(NEXT) | instid1(VALU_DEP_1)
	v_fma_f64 v[206:207], v[208:209], s[12:13], -v[199:200]
	v_add_f64 v[24:25], v[206:207], v[24:25]
	v_mul_f64 v[206:207], v[225:226], s[22:23]
	s_delay_alu instid0(VALU_DEP_2) | instskip(NEXT) | instid1(VALU_DEP_2)
	v_add_f64 v[24:25], v[82:83], v[24:25]
	v_fma_f64 v[225:226], v[245:246], s[12:13], v[206:207]
	v_mul_f64 v[82:83], v[229:230], s[30:31]
	s_delay_alu instid0(VALU_DEP_2) | instskip(NEXT) | instid1(VALU_DEP_2)
	v_add_f64 v[34:35], v[225:226], v[34:35]
	v_fma_f64 v[225:226], v[253:254], s[14:15], v[82:83]
	s_delay_alu instid0(VALU_DEP_1) | instskip(SKIP_1) | instid1(VALU_DEP_1)
	v_add_f64 v[34:35], v[225:226], v[34:35]
	v_fma_f64 v[225:226], v[104:105], s[16:17], -v[38:39]
	v_add_f64 v[225:226], v[225:226], v[24:25]
	v_fma_f64 v[24:25], v[18:19], s[16:17], v[0:1]
	v_fma_f64 v[0:1], v[18:19], s[16:17], -v[0:1]
	s_delay_alu instid0(VALU_DEP_2) | instskip(SKIP_2) | instid1(VALU_DEP_2)
	v_add_f64 v[227:228], v[24:25], v[34:35]
	v_fma_f64 v[24:25], v[195:196], s[18:19], v[30:31]
	v_fma_f64 v[30:31], v[208:209], s[12:13], v[199:200]
	v_add_f64 v[4:5], v[24:25], v[4:5]
	v_fma_f64 v[24:25], v[202:203], s[18:19], -v[184:185]
	v_add_co_u32 v184, s1, 0x7000, v193
	s_delay_alu instid0(VALU_DEP_1) | instskip(NEXT) | instid1(VALU_DEP_4)
	v_add_co_ci_u32_e64 v185, s1, 0, v194, s1
	v_add_f64 v[4:5], v[30:31], v[4:5]
	s_delay_alu instid0(VALU_DEP_4) | instskip(SKIP_1) | instid1(VALU_DEP_1)
	v_add_f64 v[24:25], v[24:25], v[231:232]
	v_fma_f64 v[30:31], v[245:246], s[12:13], -v[206:207]
	v_add_f64 v[24:25], v[30:31], v[24:25]
	v_fma_f64 v[30:31], v[249:250], s[14:15], v[80:81]
	s_delay_alu instid0(VALU_DEP_1) | instskip(SKIP_1) | instid1(VALU_DEP_1)
	v_add_f64 v[4:5], v[30:31], v[4:5]
	v_fma_f64 v[30:31], v[253:254], s[14:15], -v[82:83]
	v_add_f64 v[24:25], v[30:31], v[24:25]
	v_fma_f64 v[30:31], v[104:105], s[16:17], v[38:39]
	s_delay_alu instid0(VALU_DEP_2) | instskip(SKIP_1) | instid1(VALU_DEP_3)
	v_add_f64 v[231:232], v[0:1], v[24:25]
	v_fma_f64 v[0:1], v[195:196], s[16:17], v[26:27]
	v_add_f64 v[229:230], v[30:31], v[4:5]
	v_fma_f64 v[4:5], v[202:203], s[16:17], -v[72:73]
	v_fma_f64 v[24:25], v[208:209], s[18:19], v[186:187]
	s_delay_alu instid0(VALU_DEP_4) | instskip(NEXT) | instid1(VALU_DEP_3)
	v_add_f64 v[0:1], v[0:1], v[235:236]
	v_add_f64 v[4:5], v[4:5], v[233:234]
	s_delay_alu instid0(VALU_DEP_2) | instskip(SKIP_1) | instid1(VALU_DEP_2)
	v_add_f64 v[0:1], v[24:25], v[0:1]
	v_fma_f64 v[24:25], v[245:246], s[18:19], -v[188:189]
	v_add_f64 v[0:1], v[14:15], v[0:1]
	s_delay_alu instid0(VALU_DEP_2) | instskip(SKIP_1) | instid1(VALU_DEP_1)
	v_add_f64 v[4:5], v[24:25], v[4:5]
	v_fma_f64 v[14:15], v[253:254], s[10:11], -v[76:77]
	v_add_f64 v[4:5], v[14:15], v[4:5]
	v_fma_f64 v[14:15], v[104:105], s[14:15], v[78:79]
	s_delay_alu instid0(VALU_DEP_2) | instskip(NEXT) | instid1(VALU_DEP_2)
	v_add_f64 v[235:236], v[22:23], v[4:5]
	v_add_f64 v[233:234], v[14:15], v[0:1]
	v_fma_f64 v[0:1], v[195:196], s[10:11], v[16:17]
	v_fma_f64 v[4:5], v[202:203], s[10:11], -v[237:238]
	s_delay_alu instid0(VALU_DEP_2) | instskip(SKIP_1) | instid1(VALU_DEP_3)
	v_add_f64 v[0:1], v[0:1], v[10:11]
	v_fma_f64 v[10:11], v[208:209], s[14:15], v[239:240]
	v_add_f64 v[4:5], v[4:5], v[28:29]
	s_delay_alu instid0(VALU_DEP_2) | instskip(SKIP_1) | instid1(VALU_DEP_1)
	v_add_f64 v[0:1], v[10:11], v[0:1]
	v_fma_f64 v[10:11], v[245:246], s[14:15], -v[68:69]
	v_add_f64 v[4:5], v[10:11], v[4:5]
	v_fma_f64 v[10:11], v[249:250], s[18:19], v[70:71]
	s_delay_alu instid0(VALU_DEP_1) | instskip(SKIP_1) | instid1(VALU_DEP_1)
	v_add_f64 v[0:1], v[10:11], v[0:1]
	v_fma_f64 v[10:11], v[253:254], s[18:19], -v[32:33]
	v_add_f64 v[4:5], v[10:11], v[4:5]
	v_fma_f64 v[10:11], v[104:105], s[12:13], v[12:13]
	v_fma_f64 v[12:13], v[18:19], s[12:13], -v[20:21]
	s_delay_alu instid0(VALU_DEP_2) | instskip(SKIP_1) | instid1(VALU_DEP_3)
	v_add_f64 v[237:238], v[10:11], v[0:1]
	v_fma_f64 v[0:1], v[195:196], s[12:13], v[2:3]
	v_add_f64 v[239:240], v[12:13], v[4:5]
	v_fma_f64 v[2:3], v[202:203], s[12:13], -v[56:57]
	v_fma_f64 v[4:5], v[208:209], s[10:11], v[58:59]
	v_fma_f64 v[10:11], v[249:250], s[12:13], v[251:252]
	v_fma_f64 v[12:13], v[253:254], s[12:13], -v[36:37]
	v_add_f64 v[0:1], v[0:1], v[243:244]
	v_add_f64 v[2:3], v[2:3], v[241:242]
	s_delay_alu instid0(VALU_DEP_2) | instskip(SKIP_1) | instid1(VALU_DEP_1)
	v_add_f64 v[0:1], v[4:5], v[0:1]
	v_fma_f64 v[4:5], v[245:246], s[10:11], -v[60:61]
	v_add_f64 v[2:3], v[4:5], v[2:3]
	v_fma_f64 v[4:5], v[249:250], s[16:17], v[62:63]
	s_delay_alu instid0(VALU_DEP_1) | instskip(SKIP_1) | instid1(VALU_DEP_1)
	v_add_f64 v[0:1], v[4:5], v[0:1]
	v_fma_f64 v[4:5], v[253:254], s[16:17], -v[64:65]
	v_add_f64 v[2:3], v[4:5], v[2:3]
	v_fma_f64 v[4:5], v[104:105], s[18:19], v[66:67]
	s_delay_alu instid0(VALU_DEP_2) | instskip(NEXT) | instid1(VALU_DEP_2)
	v_add_f64 v[243:244], v[6:7], v[2:3]
	v_add_f64 v[241:242], v[4:5], v[0:1]
	scratch_load_b64 v[0:1], off, off offset:352 ; 8-byte Folded Reload
	v_add_f64 v[2:3], v[182:183], v[154:155]
	v_fma_f64 v[4:5], v[208:209], s[16:17], v[210:211]
	v_fma_f64 v[6:7], v[245:246], s[16:17], -v[247:248]
	s_delay_alu instid0(VALU_DEP_3) | instskip(NEXT) | instid1(VALU_DEP_1)
	v_add_f64 v[2:3], v[2:3], v[162:163]
	v_add_f64 v[2:3], v[2:3], v[166:167]
	s_delay_alu instid0(VALU_DEP_1) | instskip(NEXT) | instid1(VALU_DEP_1)
	v_add_f64 v[2:3], v[2:3], v[170:171]
	v_add_f64 v[2:3], v[2:3], v[174:175]
	s_delay_alu instid0(VALU_DEP_1) | instskip(NEXT) | instid1(VALU_DEP_1)
	v_add_f64 v[2:3], v[2:3], v[178:179]
	v_add_f64 v[2:3], v[2:3], v[156:157]
	s_delay_alu instid0(VALU_DEP_1) | instskip(SKIP_2) | instid1(VALU_DEP_1)
	v_add_f64 v[2:3], v[2:3], v[148:149]
	s_waitcnt vmcnt(0)
	v_add_f64 v[0:1], v[0:1], v[152:153]
	v_add_f64 v[0:1], v[0:1], v[160:161]
	s_delay_alu instid0(VALU_DEP_1) | instskip(NEXT) | instid1(VALU_DEP_1)
	v_add_f64 v[0:1], v[0:1], v[164:165]
	v_add_f64 v[0:1], v[0:1], v[168:169]
	s_delay_alu instid0(VALU_DEP_1) | instskip(NEXT) | instid1(VALU_DEP_1)
	;; [unrolled: 3-line block ×3, first 2 shown]
	v_add_f64 v[0:1], v[0:1], v[158:159]
	v_add_f64 v[0:1], v[0:1], v[150:151]
	;; [unrolled: 1-line block ×3, first 2 shown]
	v_fma_f64 v[2:3], v[202:203], s[14:15], -v[204:205]
	s_delay_alu instid0(VALU_DEP_3) | instskip(SKIP_1) | instid1(VALU_DEP_3)
	v_add_f64 v[148:149], v[0:1], v[142:143]
	v_fma_f64 v[0:1], v[195:196], s[14:15], v[197:198]
	v_add_f64 v[2:3], v[2:3], v[180:181]
	ds_store_b128 v191, v[213:216] offset:5632
	ds_store_b128 v191, v[217:220] offset:8448
	;; [unrolled: 1-line block ×9, first 2 shown]
	ds_store_b128 v191, v[148:151]
	v_add_f64 v[0:1], v[0:1], v[74:75]
	v_add_f64 v[2:3], v[6:7], v[2:3]
	v_fma_f64 v[6:7], v[18:19], s[10:11], -v[8:9]
	s_delay_alu instid0(VALU_DEP_3) | instskip(SKIP_1) | instid1(VALU_DEP_4)
	v_add_f64 v[0:1], v[4:5], v[0:1]
	v_fma_f64 v[4:5], v[104:105], s[10:11], v[106:107]
	v_add_f64 v[2:3], v[12:13], v[2:3]
	s_delay_alu instid0(VALU_DEP_3) | instskip(NEXT) | instid1(VALU_DEP_2)
	v_add_f64 v[0:1], v[10:11], v[0:1]
	v_add_f64 v[142:143], v[6:7], v[2:3]
	s_delay_alu instid0(VALU_DEP_2) | instskip(SKIP_1) | instid1(VALU_DEP_1)
	v_add_f64 v[140:141], v[4:5], v[0:1]
	v_add_co_u32 v0, s1, 0xe000, v193
	v_add_co_ci_u32_e64 v1, s1, 0, v194, s1
	ds_store_b128 v191, v[140:143] offset:28160
	s_waitcnt lgkmcnt(0)
	s_waitcnt_vscnt null, 0x0
	s_barrier
	buffer_gl0_inv
	s_clause 0x1
	global_load_b128 v[146:149], v[0:1], off offset:384
	global_load_b128 v[150:153], v[184:185], off offset:2304
	ds_load_b128 v[154:157], v191
	ds_load_b128 v[158:161], v191 offset:2816
	s_waitcnt vmcnt(0) lgkmcnt(1)
	v_mul_f64 v[0:1], v[156:157], v[152:153]
	v_mul_f64 v[2:3], v[154:155], v[152:153]
	s_delay_alu instid0(VALU_DEP_2) | instskip(SKIP_1) | instid1(VALU_DEP_1)
	v_fma_f64 v[152:153], v[154:155], v[150:151], -v[0:1]
	v_add_co_u32 v0, s1, 0xb000, v193
	v_add_co_ci_u32_e64 v1, s1, 0, v194, s1
	v_add_co_u32 v144, s1, 0x7900, v193
	s_delay_alu instid0(VALU_DEP_1)
	v_add_co_ci_u32_e64 v145, s1, 0, v194, s1
	s_clause 0x1
	global_load_b128 v[162:165], v[0:1], off offset:1408
	global_load_b128 v[166:169], v[144:145], off offset:2816
	ds_load_b128 v[170:173], v191 offset:15488
	ds_load_b128 v[174:177], v191 offset:11264
	v_fma_f64 v[154:155], v[156:157], v[150:151], v[2:3]
	s_waitcnt vmcnt(1) lgkmcnt(1)
	v_mul_f64 v[0:1], v[172:173], v[164:165]
	v_mul_f64 v[2:3], v[170:171], v[164:165]
	s_delay_alu instid0(VALU_DEP_2) | instskip(SKIP_2) | instid1(VALU_DEP_3)
	v_fma_f64 v[170:171], v[170:171], v[162:163], -v[0:1]
	s_waitcnt vmcnt(0)
	v_mul_f64 v[0:1], v[160:161], v[168:169]
	v_fma_f64 v[172:173], v[172:173], v[162:163], v[2:3]
	v_mul_f64 v[2:3], v[158:159], v[168:169]
	s_delay_alu instid0(VALU_DEP_3) | instskip(SKIP_1) | instid1(VALU_DEP_1)
	v_fma_f64 v[156:157], v[158:159], v[166:167], -v[0:1]
	v_add_co_u32 v0, s1, 0xc000, v193
	v_add_co_ci_u32_e64 v1, s1, 0, v194, s1
	s_delay_alu instid0(VALU_DEP_4)
	v_fma_f64 v[158:159], v[160:161], v[166:167], v[2:3]
	s_clause 0x1
	global_load_b128 v[160:163], v[0:1], off offset:128
	global_load_b128 v[164:167], v[0:1], off offset:2944
	ds_load_b128 v[178:181], v191 offset:18304
	ds_load_b128 v[213:216], v191 offset:21120
	s_waitcnt vmcnt(1) lgkmcnt(1)
	v_mul_f64 v[0:1], v[180:181], v[162:163]
	v_mul_f64 v[2:3], v[178:179], v[162:163]
	s_delay_alu instid0(VALU_DEP_2) | instskip(SKIP_1) | instid1(VALU_DEP_1)
	v_fma_f64 v[178:179], v[178:179], v[160:161], -v[0:1]
	v_add_co_u32 v0, s1, 0x8000, v193
	v_add_co_ci_u32_e64 v1, s1, 0, v194, s1
	s_delay_alu instid0(VALU_DEP_4) | instskip(SKIP_1) | instid1(VALU_DEP_1)
	v_fma_f64 v[180:181], v[180:181], v[160:161], v[2:3]
	v_add_co_u32 v2, s1, 0x9000, v193
	v_add_co_ci_u32_e64 v3, s1, 0, v194, s1
	s_clause 0x1
	global_load_b128 v[160:163], v[0:1], off offset:3840
	global_load_b128 v[217:220], v[2:3], off offset:2560
	ds_load_b128 v[221:224], v191 offset:5632
	ds_load_b128 v[225:228], v191 offset:8448
	s_waitcnt vmcnt(1) lgkmcnt(1)
	v_mul_f64 v[0:1], v[223:224], v[162:163]
	v_mul_f64 v[2:3], v[221:222], v[162:163]
	s_delay_alu instid0(VALU_DEP_2) | instskip(SKIP_1) | instid1(VALU_DEP_3)
	v_fma_f64 v[221:222], v[221:222], v[160:161], -v[0:1]
	v_mul_f64 v[0:1], v[215:216], v[166:167]
	v_fma_f64 v[223:224], v[223:224], v[160:161], v[2:3]
	v_mul_f64 v[2:3], v[213:214], v[166:167]
	s_delay_alu instid0(VALU_DEP_3) | instskip(SKIP_2) | instid1(VALU_DEP_3)
	v_fma_f64 v[160:161], v[213:214], v[164:165], -v[0:1]
	s_waitcnt vmcnt(0) lgkmcnt(0)
	v_mul_f64 v[0:1], v[227:228], v[219:220]
	v_fma_f64 v[162:163], v[215:216], v[164:165], v[2:3]
	v_mul_f64 v[2:3], v[225:226], v[219:220]
	s_delay_alu instid0(VALU_DEP_3) | instskip(SKIP_1) | instid1(VALU_DEP_1)
	v_fma_f64 v[164:165], v[225:226], v[217:218], -v[0:1]
	v_add_co_u32 v0, s1, 0xd000, v193
	v_add_co_ci_u32_e64 v1, s1, 0, v194, s1
	s_delay_alu instid0(VALU_DEP_4) | instskip(SKIP_1) | instid1(VALU_DEP_1)
	v_fma_f64 v[166:167], v[227:228], v[217:218], v[2:3]
	v_add_co_u32 v2, s1, 0xa000, v193
	v_add_co_ci_u32_e64 v3, s1, 0, v194, s1
	s_clause 0x1
	global_load_b128 v[213:216], v[0:1], off offset:1664
	global_load_b128 v[217:220], v[2:3], off offset:1280
	ds_load_b128 v[225:228], v191 offset:23936
	ds_load_b128 v[229:232], v191 offset:26752
	s_waitcnt vmcnt(1) lgkmcnt(1)
	v_mul_f64 v[0:1], v[227:228], v[215:216]
	v_mul_f64 v[2:3], v[225:226], v[215:216]
	s_delay_alu instid0(VALU_DEP_2) | instskip(NEXT) | instid1(VALU_DEP_2)
	v_fma_f64 v[225:226], v[225:226], v[213:214], -v[0:1]
	v_fma_f64 v[227:228], v[227:228], v[213:214], v[2:3]
	s_waitcnt vmcnt(0)
	v_mul_f64 v[0:1], v[176:177], v[219:220]
	v_mul_f64 v[2:3], v[174:175], v[219:220]
	s_delay_alu instid0(VALU_DEP_2) | instskip(NEXT) | instid1(VALU_DEP_2)
	v_fma_f64 v[174:175], v[174:175], v[217:218], -v[0:1]
	v_fma_f64 v[176:177], v[176:177], v[217:218], v[2:3]
	s_waitcnt lgkmcnt(0)
	v_mul_f64 v[0:1], v[231:232], v[148:149]
	v_mul_f64 v[2:3], v[229:230], v[148:149]
	s_delay_alu instid0(VALU_DEP_2) | instskip(NEXT) | instid1(VALU_DEP_2)
	v_fma_f64 v[148:149], v[229:230], v[146:147], -v[0:1]
	v_fma_f64 v[150:151], v[231:232], v[146:147], v[2:3]
	ds_store_b128 v191, v[152:155]
	ds_store_b128 v191, v[156:159] offset:2816
	ds_store_b128 v191, v[178:181] offset:18304
	ds_store_b128 v191, v[160:163] offset:21120
	ds_store_b128 v191, v[221:224] offset:5632
	ds_store_b128 v191, v[164:167] offset:8448
	ds_store_b128 v191, v[170:173] offset:15488
	ds_store_b128 v191, v[174:177] offset:11264
	ds_store_b128 v191, v[225:228] offset:23936
	ds_store_b128 v191, v[148:151] offset:26752
	s_and_saveexec_b32 s2, vcc_lo
	s_cbranch_execz .LBB0_17
; %bb.16:
	v_add_co_u32 v0, s1, 0x3000, v144
	s_delay_alu instid0(VALU_DEP_1) | instskip(SKIP_1) | instid1(VALU_DEP_1)
	v_add_co_ci_u32_e64 v1, s1, 0, v145, s1
	v_add_co_u32 v2, s1, 0x7000, v144
	v_add_co_ci_u32_e64 v3, s1, 0, v145, s1
	s_clause 0x1
	global_load_b128 v[144:147], v[0:1], off offset:1792
	global_load_b128 v[148:151], v[2:3], off offset:896
	ds_load_b128 v[152:155], v191 offset:14080
	ds_load_b128 v[156:159], v191 offset:29568
	s_waitcnt vmcnt(1) lgkmcnt(1)
	v_mul_f64 v[0:1], v[154:155], v[146:147]
	v_mul_f64 v[2:3], v[152:153], v[146:147]
	s_waitcnt vmcnt(0) lgkmcnt(0)
	v_mul_f64 v[4:5], v[158:159], v[150:151]
	v_mul_f64 v[6:7], v[156:157], v[150:151]
	s_delay_alu instid0(VALU_DEP_4) | instskip(NEXT) | instid1(VALU_DEP_4)
	v_fma_f64 v[150:151], v[152:153], v[144:145], -v[0:1]
	v_fma_f64 v[152:153], v[154:155], v[144:145], v[2:3]
	s_delay_alu instid0(VALU_DEP_4) | instskip(NEXT) | instid1(VALU_DEP_4)
	v_fma_f64 v[144:145], v[156:157], v[148:149], -v[4:5]
	v_fma_f64 v[146:147], v[158:159], v[148:149], v[6:7]
	ds_store_b128 v191, v[150:153] offset:14080
	ds_store_b128 v191, v[144:147] offset:29568
.LBB0_17:
	s_or_b32 exec_lo, exec_lo, s2
	s_waitcnt lgkmcnt(0)
	s_barrier
	buffer_gl0_inv
	ds_load_b128 v[144:147], v191
	ds_load_b128 v[148:151], v191 offset:2816
	ds_load_b128 v[176:179], v191 offset:18304
	;; [unrolled: 1-line block ×9, first 2 shown]
	s_and_saveexec_b32 s1, vcc_lo
	s_cbranch_execz .LBB0_19
; %bb.18:
	ds_load_b128 v[140:143], v191 offset:14080
	ds_load_b128 v[0:3], v191 offset:29568
	s_waitcnt lgkmcnt(0)
	scratch_store_b128 off, v[0:3], off     ; 16-byte Folded Spill
.LBB0_19:
	s_or_b32 exec_lo, exec_lo, s1
	scratch_load_b128 v[0:3], off, off      ; 16-byte Folded Reload
	s_waitcnt lgkmcnt(3)
	v_add_f64 v[180:181], v[144:145], -v[180:181]
	v_add_f64 v[182:183], v[146:147], -v[182:183]
	s_waitcnt vmcnt(0) lgkmcnt(0)
	s_waitcnt_vscnt null, 0x0
	s_barrier
	buffer_gl0_inv
	v_add_f64 v[176:177], v[148:149], -v[176:177]
	v_add_f64 v[178:179], v[150:151], -v[178:179]
	;; [unrolled: 1-line block ×8, first 2 shown]
	v_fma_f64 v[213:214], v[144:145], 2.0, -v[180:181]
	v_fma_f64 v[215:216], v[146:147], 2.0, -v[182:183]
	;; [unrolled: 1-line block ×10, first 2 shown]
	v_add_f64 v[104:105], v[140:141], -v[0:1]
	v_lshlrev_b32_e32 v0, 5, v192
	v_add_f64 v[106:107], v[142:143], -v[2:3]
	ds_store_b128 v0, v[213:216]
	ds_store_b128 v0, v[180:183] offset:16
	scratch_load_b32 v0, off, off offset:192 ; 4-byte Folded Reload
	s_waitcnt vmcnt(0)
	ds_store_b128 v0, v[148:151]
	ds_store_b128 v0, v[176:179] offset:16
	scratch_load_b32 v0, off, off offset:200 ; 4-byte Folded Reload
	v_fma_f64 v[144:145], v[140:141], 2.0, -v[104:105]
	v_fma_f64 v[146:147], v[142:143], 2.0, -v[106:107]
	s_waitcnt vmcnt(0)
	ds_store_b128 v0, v[156:159]
	ds_store_b128 v0, v[172:175] offset:16
	scratch_load_b32 v0, off, off offset:204 ; 4-byte Folded Reload
	s_waitcnt vmcnt(0)
	ds_store_b128 v0, v[152:155]
	ds_store_b128 v0, v[168:171] offset:16
	scratch_load_b32 v0, off, off offset:196 ; 4-byte Folded Reload
	s_waitcnt vmcnt(0)
	ds_store_b128 v0, v[160:163]
	ds_store_b128 v0, v[164:167] offset:16
	s_and_saveexec_b32 s1, vcc_lo
	s_cbranch_execz .LBB0_21
; %bb.20:
	scratch_load_b32 v0, off, off offset:360 ; 4-byte Folded Reload
	s_waitcnt vmcnt(0)
	ds_store_b128 v0, v[144:147]
	ds_store_b128 v0, v[104:107] offset:16
.LBB0_21:
	s_or_b32 exec_lo, exec_lo, s1
	s_waitcnt lgkmcnt(0)
	s_barrier
	buffer_gl0_inv
	ds_load_b128 v[148:151], v191
	ds_load_b128 v[152:155], v191 offset:2816
	ds_load_b128 v[140:143], v191 offset:18304
	;; [unrolled: 1-line block ×9, first 2 shown]
	s_and_saveexec_b32 s1, vcc_lo
	s_cbranch_execz .LBB0_23
; %bb.22:
	ds_load_b128 v[144:147], v191 offset:14080
	ds_load_b128 v[104:107], v191 offset:29568
.LBB0_23:
	s_or_b32 exec_lo, exec_lo, s1
	s_waitcnt lgkmcnt(3)
	v_mul_f64 v[0:1], v[54:55], v[182:183]
	v_mul_f64 v[8:9], v[54:55], v[170:171]
	;; [unrolled: 1-line block ×3, first 2 shown]
	s_waitcnt lgkmcnt(0)
	s_barrier
	buffer_gl0_inv
	v_mul_f64 v[2:3], v[54:55], v[180:181]
	v_mul_f64 v[4:5], v[54:55], v[142:143]
	;; [unrolled: 1-line block ×9, first 2 shown]
	v_fma_f64 v[0:1], v[52:53], v[180:181], v[0:1]
	v_fma_f64 v[8:9], v[52:53], v[168:169], v[8:9]
	v_fma_f64 v[10:11], v[52:53], v[170:171], -v[10:11]
	v_fma_f64 v[2:3], v[52:53], v[182:183], -v[2:3]
	v_fma_f64 v[4:5], v[52:53], v[140:141], v[4:5]
	v_fma_f64 v[6:7], v[52:53], v[142:143], -v[6:7]
	v_fma_f64 v[16:17], v[52:53], v[172:173], v[16:17]
	;; [unrolled: 2-line block ×4, first 2 shown]
	v_fma_f64 v[22:23], v[52:53], v[106:107], -v[22:23]
	v_add_f64 v[168:169], v[148:149], -v[0:1]
	scratch_load_b32 v0, off, off offset:264 ; 4-byte Folded Reload
	v_add_f64 v[176:177], v[160:161], -v[8:9]
	v_add_f64 v[178:179], v[162:163], -v[10:11]
	;; [unrolled: 1-line block ×11, first 2 shown]
	v_fma_f64 v[148:149], v[148:149], 2.0, -v[168:169]
	v_fma_f64 v[160:161], v[160:161], 2.0, -v[176:177]
	v_fma_f64 v[162:163], v[162:163], 2.0, -v[178:179]
	v_fma_f64 v[150:151], v[150:151], 2.0, -v[170:171]
	v_fma_f64 v[152:153], v[152:153], 2.0, -v[172:173]
	v_fma_f64 v[154:155], v[154:155], 2.0, -v[174:175]
	v_fma_f64 v[52:53], v[164:165], 2.0, -v[104:105]
	v_fma_f64 v[54:55], v[166:167], 2.0, -v[106:107]
	v_fma_f64 v[156:157], v[156:157], 2.0, -v[180:181]
	v_fma_f64 v[158:159], v[158:159], 2.0, -v[182:183]
	v_fma_f64 v[144:145], v[144:145], 2.0, -v[140:141]
	v_fma_f64 v[146:147], v[146:147], 2.0, -v[142:143]
	s_waitcnt vmcnt(0)
	ds_store_b128 v0, v[148:151]
	ds_store_b128 v0, v[168:171] offset:32
	scratch_load_b32 v0, off, off offset:260 ; 4-byte Folded Reload
	s_waitcnt vmcnt(0)
	ds_store_b128 v0, v[152:155]
	ds_store_b128 v0, v[172:175] offset:32
	scratch_load_b32 v0, off, off offset:256 ; 4-byte Folded Reload
	;; [unrolled: 4-line block ×4, first 2 shown]
	s_waitcnt vmcnt(0)
	ds_store_b128 v0, v[52:55]
	ds_store_b128 v0, v[104:107] offset:32
	s_and_saveexec_b32 s1, vcc_lo
	s_cbranch_execz .LBB0_25
; %bb.24:
	scratch_load_b32 v1, off, off offset:208 ; 4-byte Folded Reload
	v_and_b32_e32 v0, 1, v192
	s_waitcnt vmcnt(0)
	s_delay_alu instid0(VALU_DEP_1) | instskip(NEXT) | instid1(VALU_DEP_1)
	v_and_or_b32 v0, 0x7fc, v1, v0
	v_lshlrev_b32_e32 v0, 4, v0
	ds_store_b128 v0, v[144:147]
	ds_store_b128 v0, v[140:143] offset:32
.LBB0_25:
	s_or_b32 exec_lo, exec_lo, s1
	s_waitcnt lgkmcnt(0)
	s_barrier
	buffer_gl0_inv
	ds_load_b128 v[148:151], v191
	ds_load_b128 v[152:155], v191 offset:2816
	ds_load_b128 v[168:171], v191 offset:7744
	;; [unrolled: 1-line block ×7, first 2 shown]
	s_and_saveexec_b32 s1, s0
	s_cbranch_execz .LBB0_27
; %bb.26:
	ds_load_b128 v[52:55], v191 offset:5632
	ds_load_b128 v[104:107], v191 offset:13376
	ds_load_b128 v[144:147], v191 offset:21120
	ds_load_b128 v[140:143], v191 offset:28864
.LBB0_27:
	s_or_b32 exec_lo, exec_lo, s1
	s_waitcnt lgkmcnt(5)
	v_mul_f64 v[0:1], v[50:51], v[170:171]
	s_waitcnt lgkmcnt(3)
	v_mul_f64 v[4:5], v[46:47], v[174:175]
	;; [unrolled: 2-line block ×3, first 2 shown]
	v_mul_f64 v[12:13], v[50:51], v[158:159]
	v_mul_f64 v[14:15], v[50:51], v[156:157]
	s_waitcnt lgkmcnt(0)
	s_barrier
	buffer_gl0_inv
	v_mul_f64 v[2:3], v[50:51], v[168:169]
	v_mul_f64 v[6:7], v[46:47], v[172:173]
	;; [unrolled: 1-line block ×7, first 2 shown]
	v_fma_f64 v[0:1], v[48:49], v[168:169], v[0:1]
	v_fma_f64 v[4:5], v[44:45], v[172:173], v[4:5]
	;; [unrolled: 1-line block ×4, first 2 shown]
	v_fma_f64 v[14:15], v[48:49], v[158:159], -v[14:15]
	v_fma_f64 v[2:3], v[48:49], v[170:171], -v[2:3]
	;; [unrolled: 1-line block ×4, first 2 shown]
	v_fma_f64 v[16:17], v[44:45], v[160:161], v[16:17]
	v_fma_f64 v[18:19], v[44:45], v[162:163], -v[18:19]
	v_fma_f64 v[20:21], v[40:41], v[164:165], v[20:21]
	v_fma_f64 v[22:23], v[40:41], v[166:167], -v[22:23]
	v_add_f64 v[4:5], v[148:149], -v[4:5]
	v_add_f64 v[8:9], v[0:1], -v[8:9]
	;; [unrolled: 1-line block ×8, first 2 shown]
	v_fma_f64 v[24:25], v[148:149], 2.0, -v[4:5]
	v_fma_f64 v[0:1], v[0:1], 2.0, -v[8:9]
	;; [unrolled: 1-line block ×8, first 2 shown]
	v_add_f64 v[148:149], v[4:5], v[10:11]
	v_add_f64 v[150:151], v[6:7], -v[8:9]
	v_add_f64 v[152:153], v[16:17], v[22:23]
	v_add_f64 v[154:155], v[18:19], -v[20:21]
	v_add_f64 v[156:157], v[24:25], -v[0:1]
	scratch_load_b32 v0, off, off offset:300 ; 4-byte Folded Reload
	v_add_f64 v[158:159], v[26:27], -v[2:3]
	v_add_f64 v[160:161], v[28:29], -v[12:13]
	;; [unrolled: 1-line block ×3, first 2 shown]
	v_fma_f64 v[164:165], v[4:5], 2.0, -v[148:149]
	v_fma_f64 v[166:167], v[6:7], 2.0, -v[150:151]
	;; [unrolled: 1-line block ×8, first 2 shown]
	s_waitcnt vmcnt(0)
	ds_store_b128 v0, v[156:159] offset:128
	ds_store_b128 v0, v[148:151] offset:192
	ds_store_b128 v0, v[172:175]
	ds_store_b128 v0, v[164:167] offset:64
	ds_store_b128 v201, v[176:179]
	ds_store_b128 v201, v[168:171] offset:64
	ds_store_b128 v201, v[160:163] offset:128
	;; [unrolled: 1-line block ×3, first 2 shown]
	s_and_saveexec_b32 s1, s0
	s_cbranch_execz .LBB0_29
; %bb.28:
	v_mul_f64 v[0:1], v[46:47], v[144:145]
	v_mul_f64 v[2:3], v[50:51], v[106:107]
	;; [unrolled: 1-line block ×6, first 2 shown]
	v_fma_f64 v[0:1], v[44:45], v[146:147], -v[0:1]
	v_fma_f64 v[2:3], v[48:49], v[104:105], v[2:3]
	v_fma_f64 v[10:11], v[40:41], v[140:141], v[10:11]
	v_fma_f64 v[6:7], v[40:41], v[142:143], -v[6:7]
	v_fma_f64 v[4:5], v[48:49], v[106:107], -v[4:5]
	v_fma_f64 v[8:9], v[44:45], v[144:145], v[8:9]
	v_add_f64 v[0:1], v[54:55], -v[0:1]
	v_add_f64 v[10:11], v[2:3], -v[10:11]
	s_delay_alu instid0(VALU_DEP_4) | instskip(NEXT) | instid1(VALU_DEP_4)
	v_add_f64 v[6:7], v[4:5], -v[6:7]
	v_add_f64 v[8:9], v[52:53], -v[8:9]
	s_delay_alu instid0(VALU_DEP_4) | instskip(NEXT) | instid1(VALU_DEP_4)
	v_fma_f64 v[12:13], v[54:55], 2.0, -v[0:1]
	v_add_f64 v[42:43], v[0:1], -v[10:11]
	v_fma_f64 v[2:3], v[2:3], 2.0, -v[10:11]
	v_fma_f64 v[4:5], v[4:5], 2.0, -v[6:7]
	;; [unrolled: 1-line block ×3, first 2 shown]
	v_add_f64 v[40:41], v[8:9], v[6:7]
	v_fma_f64 v[50:51], v[0:1], 2.0, -v[42:43]
	scratch_load_b32 v1, off, off offset:252 ; 4-byte Folded Reload
	v_add_f64 v[46:47], v[12:13], -v[4:5]
	v_add_f64 v[44:45], v[14:15], -v[2:3]
	v_fma_f64 v[48:49], v[8:9], 2.0, -v[40:41]
	v_and_b32_e32 v0, 3, v192
	s_delay_alu instid0(VALU_DEP_4) | instskip(NEXT) | instid1(VALU_DEP_4)
	v_fma_f64 v[54:55], v[12:13], 2.0, -v[46:47]
	v_fma_f64 v[52:53], v[14:15], 2.0, -v[44:45]
	s_waitcnt vmcnt(0)
	s_delay_alu instid0(VALU_DEP_3) | instskip(NEXT) | instid1(VALU_DEP_1)
	v_and_or_b32 v0, 0xff0, v1, v0
	v_lshlrev_b32_e32 v0, 4, v0
	ds_store_b128 v0, v[52:55]
	ds_store_b128 v0, v[48:51] offset:64
	ds_store_b128 v0, v[44:47] offset:128
	ds_store_b128 v0, v[40:43] offset:192
.LBB0_29:
	s_or_b32 exec_lo, exec_lo, s1
	s_waitcnt lgkmcnt(0)
	s_barrier
	buffer_gl0_inv
	ds_load_b128 v[40:43], v191 offset:2816
	ds_load_b128 v[52:55], v191
	scratch_load_b128 v[12:15], off, off offset:232 ; 16-byte Folded Reload
	ds_load_b128 v[44:47], v191 offset:28160
	ds_load_b128 v[48:51], v191 offset:5632
	ds_load_b128 v[104:107], v191 offset:25344
	scratch_load_b128 v[56:59], off, off offset:212 ; 16-byte Folded Reload
	ds_load_b128 v[140:143], v191 offset:8448
	ds_load_b128 v[144:147], v191 offset:22528
	ds_load_b128 v[148:151], v191 offset:19712
	;; [unrolled: 4-line block ×3, first 2 shown]
	s_mov_b32 s0, 0xf8bb580b
	s_mov_b32 s12, 0x8eee2c13
	s_mov_b32 s1, 0xbfe14ced
	s_mov_b32 s2, 0x8764f0ba
	s_mov_b32 s13, 0xbfed1bb4
	s_mov_b32 s18, 0x43842ef
	s_mov_b32 s20, 0x640f44db
	s_mov_b32 s3, 0x3feaeb8c
	s_mov_b32 s19, 0xbfefac9e
	s_mov_b32 s21, 0xbfc2375f
	s_mov_b32 s24, 0xbb3a28a1
	s_mov_b32 s26, 0x7f775887
	s_mov_b32 s25, 0xbfe82f19
	s_waitcnt lgkmcnt(5)
	v_mul_f64 v[18:19], v[86:87], v[142:143]
	s_waitcnt lgkmcnt(4)
	v_mul_f64 v[24:25], v[94:95], v[146:147]
	;; [unrolled: 2-line block ×3, first 2 shown]
	v_mul_f64 v[30:31], v[90:91], v[148:149]
	s_mov_b32 s27, 0xbfe4f49e
	s_waitcnt lgkmcnt(1)
	v_mul_f64 v[32:33], v[102:103], v[158:159]
	v_mul_f64 v[34:35], v[102:103], v[156:157]
	s_waitcnt lgkmcnt(0)
	v_mul_f64 v[36:37], v[98:99], v[60:61]
	s_mov_b32 s30, 0xfd768dbf
	s_mov_b32 s34, 0x9bcd5057
	;; [unrolled: 1-line block ×14, first 2 shown]
	s_waitcnt vmcnt(2)
	v_mul_f64 v[0:1], v[14:15], v[42:43]
	v_mul_f64 v[2:3], v[14:15], v[40:41]
	s_waitcnt vmcnt(1)
	v_mul_f64 v[4:5], v[58:59], v[44:45]
	v_mul_f64 v[14:15], v[94:95], v[144:145]
	;; [unrolled: 3-line block ×3, first 2 shown]
	scratch_load_b128 v[66:69], off, off offset:284 ; 16-byte Folded Reload
	v_mul_f64 v[16:17], v[58:59], v[46:47]
	v_fma_f64 v[0:1], v[12:13], v[40:41], v[0:1]
	v_fma_f64 v[2:3], v[12:13], v[42:43], -v[2:3]
	v_mul_f64 v[12:13], v[86:87], v[140:141]
	v_fma_f64 v[40:41], v[56:57], v[46:47], -v[4:5]
	v_fma_f64 v[6:7], v[64:65], v[48:49], v[6:7]
	v_fma_f64 v[8:9], v[64:65], v[50:51], -v[8:9]
	v_fma_f64 v[48:49], v[92:93], v[146:147], -v[14:15]
	v_fma_f64 v[14:15], v[84:85], v[140:141], v[18:19]
	v_fma_f64 v[50:51], v[92:93], v[144:145], v[24:25]
	v_fma_f64 v[24:25], v[100:101], v[156:157], v[32:33]
	v_fma_f64 v[44:45], v[56:57], v[44:45], v[16:17]
	v_mul_f64 v[4:5], v[98:99], v[62:63]
	v_add_f64 v[38:39], v[54:55], v[2:3]
	v_fma_f64 v[12:13], v[84:85], v[142:143], -v[12:13]
	s_delay_alu instid0(VALU_DEP_4) | instskip(NEXT) | instid1(VALU_DEP_4)
	v_add_f64 v[56:57], v[0:1], v[44:45]
	v_fma_f64 v[4:5], v[96:97], v[60:61], v[4:5]
	v_add_f64 v[60:61], v[14:15], v[50:51]
	s_delay_alu instid0(VALU_DEP_2)
	v_add_f64 v[76:77], v[24:25], v[4:5]
	v_add_f64 v[84:85], v[24:25], -v[4:5]
	s_waitcnt vmcnt(0)
	v_mul_f64 v[10:11], v[68:69], v[104:105]
	v_mul_f64 v[20:21], v[68:69], v[106:107]
	scratch_load_b128 v[68:71], off, off offset:336 ; 16-byte Folded Reload
	s_waitcnt vmcnt(0)
	s_barrier
	buffer_gl0_inv
	v_fma_f64 v[42:43], v[66:67], v[106:107], -v[10:11]
	v_add_f64 v[10:11], v[52:53], v[0:1]
	v_fma_f64 v[46:47], v[66:67], v[104:105], v[20:21]
	v_fma_f64 v[20:21], v[88:89], v[148:149], v[28:29]
	v_add_f64 v[28:29], v[2:3], -v[40:41]
	v_add_f64 v[2:3], v[2:3], v[40:41]
	v_add_f64 v[0:1], v[0:1], -v[44:45]
	v_add_f64 v[32:33], v[8:9], -v[42:43]
	v_add_f64 v[10:11], v[10:11], v[6:7]
	v_add_f64 v[58:59], v[6:7], v[46:47]
	v_add_f64 v[6:7], v[6:7], -v[46:47]
	v_mul_f64 v[72:73], v[28:29], s[0:1]
	v_mul_f64 v[80:81], v[28:29], s[12:13]
	;; [unrolled: 1-line block ×9, first 2 shown]
	v_add_f64 v[10:11], v[10:11], v[14:15]
	v_fma_f64 v[160:161], v[56:57], s[2:3], v[72:73]
	v_fma_f64 v[72:73], v[56:57], s[2:3], -v[72:73]
	v_fma_f64 v[164:165], v[56:57], s[14:15], v[80:81]
	v_fma_f64 v[166:167], v[0:1], s[16:17], v[82:83]
	;; [unrolled: 1-line block ×9, first 2 shown]
	v_fma_f64 v[80:81], v[56:57], s[14:15], -v[80:81]
	v_fma_f64 v[92:93], v[56:57], s[26:27], -v[92:93]
	v_fma_f64 v[186:187], v[58:59], s[20:21], v[104:105]
	v_fma_f64 v[104:105], v[58:59], s[20:21], -v[104:105]
	v_add_f64 v[160:161], v[52:53], v[160:161]
	v_add_f64 v[72:73], v[52:53], v[72:73]
	;; [unrolled: 1-line block ×14, first 2 shown]
	s_delay_alu instid0(VALU_DEP_2) | instskip(SKIP_2) | instid1(VALU_DEP_2)
	v_add_f64 v[92:93], v[104:105], v[92:93]
	v_mul_f64 v[26:27], v[70:71], v[152:153]
	v_mul_f64 v[22:23], v[70:71], v[154:155]
	v_fma_f64 v[18:19], v[68:69], v[154:155], -v[26:27]
	v_fma_f64 v[26:27], v[100:101], v[158:159], -v[34:35]
	v_add_f64 v[34:35], v[8:9], v[42:43]
	v_add_f64 v[8:9], v[38:39], v[8:9]
	v_fma_f64 v[16:17], v[68:69], v[152:153], v[22:23]
	v_fma_f64 v[22:23], v[88:89], v[150:151], -v[30:31]
	v_mul_f64 v[88:89], v[28:29], s[18:19]
	v_mul_f64 v[28:29], v[28:29], s[30:31]
	v_fma_f64 v[30:31], v[96:97], v[62:63], -v[36:37]
	v_add_f64 v[36:37], v[12:13], -v[48:49]
	v_add_f64 v[38:39], v[12:13], v[48:49]
	v_mul_f64 v[96:97], v[32:33], s[12:13]
	v_add_f64 v[62:63], v[14:15], -v[50:51]
	v_mul_f64 v[100:101], v[32:33], s[36:37]
	v_mul_f64 v[98:99], v[34:35], s[26:27]
	v_add_f64 v[8:9], v[8:9], v[12:13]
	v_add_f64 v[10:11], v[10:11], v[16:17]
	v_mul_f64 v[12:13], v[32:33], s[24:25]
	v_mul_f64 v[14:15], v[34:35], s[14:15]
	;; [unrolled: 1-line block ×3, first 2 shown]
	v_fma_f64 v[168:169], v[56:57], s[20:21], v[88:89]
	v_mul_f64 v[106:107], v[34:35], s[20:21]
	v_add_f64 v[64:65], v[16:17], v[20:21]
	v_add_f64 v[66:67], v[18:19], v[22:23]
	v_add_f64 v[68:69], v[18:19], -v[22:23]
	v_add_f64 v[70:71], v[16:17], -v[20:21]
	v_mul_f64 v[32:33], v[32:33], s[10:11]
	v_mul_f64 v[34:35], v[34:35], s[2:3]
	v_fma_f64 v[16:17], v[0:1], s[24:25], v[94:95]
	v_fma_f64 v[94:95], v[0:1], s[36:37], v[2:3]
	;; [unrolled: 1-line block ×3, first 2 shown]
	v_fma_f64 v[88:89], v[56:57], s[20:21], -v[88:89]
	v_mul_f64 v[140:141], v[36:37], s[18:19]
	v_mul_f64 v[142:143], v[38:39], s[20:21]
	;; [unrolled: 1-line block ×10, first 2 shown]
	v_fma_f64 v[2:3], v[58:59], s[14:15], v[96:97]
	v_fma_f64 v[96:97], v[58:59], s[14:15], -v[96:97]
	v_fma_f64 v[180:181], v[58:59], s[34:35], v[100:101]
	v_fma_f64 v[100:101], v[58:59], s[34:35], -v[100:101]
	v_add_f64 v[78:79], v[26:27], v[30:31]
	v_add_f64 v[86:87], v[26:27], -v[30:31]
	v_fma_f64 v[178:179], v[6:7], s[28:29], v[98:99]
	v_add_f64 v[8:9], v[8:9], v[18:19]
	v_fma_f64 v[18:19], v[56:57], s[34:35], v[28:29]
	v_fma_f64 v[28:29], v[56:57], s[34:35], -v[28:29]
	v_add_f64 v[10:11], v[10:11], v[24:25]
	v_fma_f64 v[176:177], v[58:59], s[26:27], v[12:13]
	v_fma_f64 v[56:57], v[6:7], s[16:17], v[14:15]
	;; [unrolled: 1-line block ×4, first 2 shown]
	v_add_f64 v[168:169], v[52:53], v[168:169]
	v_fma_f64 v[188:189], v[6:7], s[18:19], v[106:107]
	v_fma_f64 v[98:99], v[6:7], s[24:25], v[98:99]
	;; [unrolled: 1-line block ×5, first 2 shown]
	v_add_f64 v[94:95], v[54:55], v[94:95]
	v_fma_f64 v[106:107], v[6:7], s[22:23], v[106:107]
	v_fma_f64 v[32:33], v[58:59], s[2:3], -v[32:33]
	v_fma_f64 v[6:7], v[6:7], s[10:11], v[34:35]
	v_add_f64 v[0:1], v[54:55], v[0:1]
	v_fma_f64 v[12:13], v[58:59], s[26:27], -v[12:13]
	v_add_f64 v[16:17], v[54:55], v[16:17]
	v_add_f64 v[88:89], v[52:53], v[88:89]
	v_fma_f64 v[34:35], v[60:61], s[20:21], v[140:141]
	v_fma_f64 v[58:59], v[62:63], s[22:23], v[142:143]
	v_fma_f64 v[140:141], v[60:61], s[20:21], -v[140:141]
	v_fma_f64 v[142:143], v[62:63], s[18:19], v[142:143]
	v_fma_f64 v[197:198], v[60:61], s[34:35], v[144:145]
	;; [unrolled: 1-line block ×3, first 2 shown]
	v_fma_f64 v[144:145], v[60:61], s[34:35], -v[144:145]
	v_fma_f64 v[146:147], v[62:63], s[36:37], v[146:147]
	v_fma_f64 v[24:25], v[60:61], s[14:15], v[148:149]
	v_fma_f64 v[148:149], v[60:61], s[14:15], -v[148:149]
	v_fma_f64 v[201:202], v[60:61], s[2:3], v[152:153]
	v_fma_f64 v[54:55], v[60:61], s[2:3], -v[152:153]
	v_fma_f64 v[152:153], v[62:63], s[0:1], v[154:155]
	v_add_f64 v[2:3], v[2:3], v[160:161]
	v_mul_f64 v[160:161], v[66:67], s[20:21]
	v_add_f64 v[72:73], v[96:97], v[72:73]
	v_add_f64 v[8:9], v[8:9], v[26:27]
	;; [unrolled: 1-line block ×5, first 2 shown]
	v_fma_f64 v[26:27], v[62:63], s[12:13], v[150:151]
	v_fma_f64 v[150:151], v[62:63], s[16:17], v[150:151]
	;; [unrolled: 1-line block ×4, first 2 shown]
	v_fma_f64 v[36:37], v[60:61], s[26:27], -v[36:37]
	v_fma_f64 v[60:61], v[62:63], s[28:29], v[38:39]
	v_fma_f64 v[38:39], v[62:63], s[24:25], v[38:39]
	v_mul_f64 v[62:63], v[68:69], s[22:23]
	v_add_f64 v[164:165], v[176:177], v[164:165]
	v_add_f64 v[166:167], v[178:179], v[166:167]
	v_mul_f64 v[96:97], v[68:69], s[0:1]
	v_add_f64 v[14:15], v[14:15], v[74:75]
	v_mul_f64 v[74:75], v[66:67], s[2:3]
	v_add_f64 v[168:169], v[180:181], v[168:169]
	v_add_f64 v[170:171], v[182:183], v[170:171]
	v_mul_f64 v[156:157], v[68:69], s[24:25]
	v_mul_f64 v[10:11], v[68:69], s[30:31]
	v_add_f64 v[174:175], v[188:189], v[174:175]
	v_mul_f64 v[158:159], v[66:67], s[26:27]
	v_mul_f64 v[68:69], v[68:69], s[16:17]
	v_add_f64 v[94:95], v[195:196], v[94:95]
	v_add_f64 v[0:1], v[6:7], v[0:1]
	;; [unrolled: 1-line block ×7, first 2 shown]
	v_mul_f64 v[80:81], v[86:87], s[10:11]
	v_mul_f64 v[180:181], v[78:79], s[2:3]
	;; [unrolled: 1-line block ×4, first 2 shown]
	v_add_f64 v[2:3], v[34:35], v[2:3]
	v_mul_f64 v[176:177], v[86:87], s[30:31]
	v_add_f64 v[34:35], v[140:141], v[72:73]
	v_add_f64 v[8:9], v[8:9], v[30:31]
	v_mul_f64 v[30:31], v[66:67], s[34:35]
	v_mul_f64 v[66:67], v[66:67], s[14:15]
	v_add_f64 v[18:19], v[193:194], v[18:19]
	v_add_f64 v[28:29], v[32:33], v[28:29]
	;; [unrolled: 1-line block ×4, first 2 shown]
	v_fma_f64 v[32:33], v[70:71], s[18:19], v[160:161]
	v_mul_f64 v[186:187], v[86:87], s[16:17]
	v_mul_f64 v[188:189], v[78:79], s[14:15]
	v_mul_f64 v[178:179], v[78:79], s[34:35]
	v_fma_f64 v[195:196], v[64:65], s[20:21], v[62:63]
	v_add_f64 v[72:73], v[197:198], v[164:165]
	v_add_f64 v[140:141], v[199:200], v[166:167]
	v_fma_f64 v[90:91], v[64:65], s[2:3], -v[96:97]
	v_add_f64 v[14:15], v[142:143], v[14:15]
	v_fma_f64 v[56:57], v[70:71], s[10:11], v[74:75]
	v_add_f64 v[24:25], v[24:25], v[168:169]
	v_add_f64 v[26:27], v[26:27], v[170:171]
	v_fma_f64 v[104:105], v[64:65], s[26:27], v[156:157]
	v_add_f64 v[142:143], v[201:202], v[172:173]
	v_add_f64 v[52:53], v[52:53], v[174:175]
	v_mul_f64 v[86:87], v[86:87], s[18:19]
	v_mul_f64 v[78:79], v[78:79], s[20:21]
	v_fma_f64 v[102:103], v[64:65], s[14:15], v[68:69]
	v_add_f64 v[60:61], v[60:61], v[94:95]
	v_fma_f64 v[156:157], v[64:65], s[26:27], -v[156:157]
	v_fma_f64 v[62:63], v[64:65], s[20:21], -v[62:63]
	v_add_f64 v[0:1], v[38:39], v[0:1]
	v_add_f64 v[12:13], v[144:145], v[12:13]
	;; [unrolled: 1-line block ×4, first 2 shown]
	v_fma_f64 v[74:75], v[70:71], s[0:1], v[74:75]
	v_add_f64 v[88:89], v[148:149], v[88:89]
	v_add_f64 v[16:17], v[150:151], v[16:17]
	v_fma_f64 v[160:161], v[70:71], s[22:23], v[160:161]
	v_fma_f64 v[193:194], v[70:71], s[28:29], v[158:159]
	;; [unrolled: 1-line block ×3, first 2 shown]
	v_add_f64 v[8:9], v[8:9], v[22:23]
	v_fma_f64 v[22:23], v[64:65], s[2:3], v[96:97]
	v_fma_f64 v[96:97], v[64:65], s[34:35], v[10:11]
	;; [unrolled: 1-line block ×4, first 2 shown]
	v_add_f64 v[18:19], v[154:155], v[18:19]
	v_fma_f64 v[10:11], v[64:65], s[34:35], -v[10:11]
	v_fma_f64 v[64:65], v[64:65], s[14:15], -v[68:69]
	v_fma_f64 v[66:67], v[70:71], s[16:17], v[66:67]
	v_add_f64 v[28:29], v[36:37], v[28:29]
	v_fma_f64 v[30:31], v[70:71], s[30:31], v[30:31]
	v_add_f64 v[36:37], v[146:147], v[82:83]
	v_add_f64 v[4:5], v[4:5], v[50:51]
	;; [unrolled: 1-line block ×3, first 2 shown]
	v_fma_f64 v[38:39], v[76:77], s[2:3], v[80:81]
	v_fma_f64 v[58:59], v[84:85], s[0:1], v[180:181]
	v_add_f64 v[50:51], v[195:196], v[72:73]
	v_add_f64 v[32:33], v[32:33], v[140:141]
	v_fma_f64 v[82:83], v[76:77], s[26:27], v[182:183]
	v_fma_f64 v[94:95], v[84:85], s[28:29], v[100:101]
	;; [unrolled: 1-line block ×5, first 2 shown]
	v_add_f64 v[2:3], v[104:105], v[2:3]
	v_fma_f64 v[162:163], v[76:77], s[34:35], -v[176:177]
	v_fma_f64 v[80:81], v[76:77], s[2:3], -v[80:81]
	;; [unrolled: 1-line block ×4, first 2 shown]
	v_fma_f64 v[154:155], v[76:77], s[20:21], v[86:87]
	v_fma_f64 v[164:165], v[84:85], s[22:23], v[78:79]
	v_fma_f64 v[76:77], v[76:77], s[20:21], -v[86:87]
	v_fma_f64 v[78:79], v[84:85], s[18:19], v[78:79]
	v_fma_f64 v[152:153], v[84:85], s[16:17], v[188:189]
	v_add_f64 v[12:13], v[62:63], v[12:13]
	v_fma_f64 v[100:101], v[84:85], s[24:25], v[100:101]
	v_add_f64 v[16:17], v[74:75], v[16:17]
	v_fma_f64 v[92:93], v[84:85], s[10:11], v[180:181]
	v_fma_f64 v[176:177], v[84:85], s[30:31], v[178:179]
	v_add_f64 v[8:9], v[8:9], v[48:49]
	v_add_f64 v[22:23], v[22:23], v[24:25]
	;; [unrolled: 1-line block ×16, first 2 shown]
	v_fma_f64 v[70:71], v[84:85], s[36:37], v[178:179]
	v_add_f64 v[20:21], v[193:194], v[20:21]
	v_add_f64 v[50:51], v[38:39], v[50:51]
	;; [unrolled: 1-line block ×24, first 2 shown]
	ds_store_b128 v212, v[50:53] offset:512
	ds_store_b128 v212, v[58:61] offset:768
	;; [unrolled: 1-line block ×9, first 2 shown]
	ds_store_b128 v212, v[92:95]
	ds_store_b128 v212, v[42:45] offset:256
	s_waitcnt lgkmcnt(0)
	s_barrier
	buffer_gl0_inv
	ds_load_b128 v[40:43], v191 offset:2816
	ds_load_b128 v[52:55], v191
	scratch_load_b128 v[12:15], off, off offset:304 ; 16-byte Folded Reload
	ds_load_b128 v[46:49], v191 offset:28160
	ds_load_b128 v[56:59], v191 offset:5632
	;; [unrolled: 1-line block ×8, first 2 shown]
	scratch_load_b128 v[72:75], off, off offset:320 ; 16-byte Folded Reload
	ds_load_b128 v[92:95], v191 offset:14080
	s_waitcnt lgkmcnt(5)
	v_mul_f64 v[18:19], v[122:123], v[66:67]
	v_mul_f64 v[4:5], v[114:115], v[46:47]
	;; [unrolled: 1-line block ×5, first 2 shown]
	s_waitcnt lgkmcnt(3)
	v_mul_f64 v[26:27], v[118:119], v[80:81]
	s_waitcnt lgkmcnt(1)
	v_mul_f64 v[28:29], v[126:127], v[90:91]
	;; [unrolled: 2-line block ×3, first 2 shown]
	v_mul_f64 v[36:37], v[134:135], v[86:87]
	v_mul_f64 v[22:23], v[118:119], v[82:83]
	;; [unrolled: 1-line block ×6, first 2 shown]
	v_fma_f64 v[44:45], v[108:109], v[62:63], -v[8:9]
	v_fma_f64 v[50:51], v[128:129], v[68:69], v[24:25]
	s_delay_alu instid0(VALU_DEP_4)
	v_fma_f64 v[24:25], v[136:137], v[92:93], v[32:33]
	s_waitcnt vmcnt(1)
	v_mul_f64 v[0:1], v[14:15], v[42:43]
	v_mul_f64 v[2:3], v[14:15], v[40:41]
	;; [unrolled: 1-line block ×3, first 2 shown]
	s_waitcnt vmcnt(0)
	v_mul_f64 v[6:7], v[74:75], v[56:57]
	v_mul_f64 v[10:11], v[74:75], v[58:59]
	v_fma_f64 v[0:1], v[12:13], v[40:41], v[0:1]
	v_fma_f64 v[2:3], v[12:13], v[42:43], -v[2:3]
	v_mul_f64 v[12:13], v[122:123], v[64:65]
	v_fma_f64 v[40:41], v[112:113], v[48:49], -v[4:5]
	v_fma_f64 v[4:5], v[72:73], v[58:59], -v[6:7]
	v_fma_f64 v[6:7], v[72:73], v[56:57], v[10:11]
	v_fma_f64 v[48:49], v[128:129], v[70:71], -v[14:15]
	v_fma_f64 v[42:43], v[112:113], v[46:47], v[16:17]
	v_fma_f64 v[14:15], v[120:121], v[64:65], v[18:19]
	;; [unrolled: 1-line block ×3, first 2 shown]
	v_fma_f64 v[18:19], v[116:117], v[82:83], -v[26:27]
	v_fma_f64 v[20:21], v[124:125], v[88:89], v[28:29]
	v_fma_f64 v[26:27], v[136:137], v[94:95], -v[34:35]
	v_fma_f64 v[28:29], v[132:133], v[84:85], v[36:37]
	v_fma_f64 v[16:17], v[116:117], v[80:81], v[22:23]
	v_fma_f64 v[22:23], v[124:125], v[90:91], -v[30:31]
	v_fma_f64 v[30:31], v[132:133], v[86:87], -v[38:39]
	v_add_f64 v[8:9], v[52:53], v[0:1]
	v_add_f64 v[10:11], v[54:55], v[2:3]
	v_fma_f64 v[12:13], v[120:121], v[66:67], -v[12:13]
	v_add_f64 v[32:33], v[2:3], -v[40:41]
	v_add_f64 v[34:35], v[4:5], -v[44:45]
	v_add_f64 v[36:37], v[4:5], v[44:45]
	v_add_f64 v[2:3], v[2:3], v[40:41]
	;; [unrolled: 1-line block ×3, first 2 shown]
	v_add_f64 v[0:1], v[0:1], -v[42:43]
	v_add_f64 v[58:59], v[6:7], v[46:47]
	v_add_f64 v[60:61], v[14:15], v[50:51]
	v_add_f64 v[62:63], v[14:15], -v[50:51]
	v_add_f64 v[72:73], v[24:25], v[28:29]
	v_add_f64 v[64:65], v[16:17], v[20:21]
	;; [unrolled: 1-line block ×4, first 2 shown]
	v_add_f64 v[68:69], v[18:19], -v[22:23]
	v_add_f64 v[70:71], v[16:17], -v[20:21]
	;; [unrolled: 1-line block ×4, first 2 shown]
	v_add_f64 v[8:9], v[8:9], v[6:7]
	v_add_f64 v[4:5], v[10:11], v[4:5]
	v_add_f64 v[10:11], v[12:13], -v[48:49]
	v_mul_f64 v[80:81], v[32:33], s[0:1]
	v_mul_f64 v[84:85], v[32:33], s[12:13]
	;; [unrolled: 1-line block ×10, first 2 shown]
	v_add_f64 v[38:39], v[12:13], v[48:49]
	v_add_f64 v[6:7], v[6:7], -v[46:47]
	v_mul_f64 v[96:97], v[34:35], s[12:13]
	v_mul_f64 v[98:99], v[36:37], s[14:15]
	;; [unrolled: 1-line block ×23, first 2 shown]
	v_add_f64 v[8:9], v[8:9], v[14:15]
	v_add_f64 v[4:5], v[4:5], v[12:13]
	v_mul_f64 v[12:13], v[36:37], s[26:27]
	v_mul_f64 v[14:15], v[34:35], s[36:37]
	v_fma_f64 v[156:157], v[56:57], s[14:15], v[84:85]
	v_fma_f64 v[84:85], v[56:57], s[14:15], -v[84:85]
	v_fma_f64 v[160:161], v[56:57], s[20:21], v[88:89]
	v_fma_f64 v[158:159], v[0:1], s[16:17], v[86:87]
	;; [unrolled: 1-line block ×3, first 2 shown]
	v_fma_f64 v[88:89], v[56:57], s[20:21], -v[88:89]
	v_fma_f64 v[164:165], v[56:57], s[26:27], v[92:93]
	v_fma_f64 v[166:167], v[0:1], s[28:29], v[94:95]
	v_mul_f64 v[34:35], v[34:35], s[10:11]
	v_mul_f64 v[36:37], v[36:37], s[2:3]
	v_fma_f64 v[92:93], v[56:57], s[26:27], -v[92:93]
	v_fma_f64 v[168:169], v[56:57], s[34:35], v[32:33]
	v_fma_f64 v[170:171], v[0:1], s[36:37], v[2:3]
	;; [unrolled: 1-line block ×5, first 2 shown]
	v_fma_f64 v[32:33], v[56:57], s[34:35], -v[32:33]
	v_mul_f64 v[108:109], v[10:11], s[18:19]
	v_mul_f64 v[110:111], v[38:39], s[20:21]
	v_mul_f64 v[112:113], v[10:11], s[36:37]
	v_mul_f64 v[114:115], v[38:39], s[34:35]
	v_fma_f64 v[172:173], v[58:59], s[26:27], v[100:101]
	v_mul_f64 v[116:117], v[10:11], s[16:17]
	v_mul_f64 v[118:119], v[38:39], s[14:15]
	v_fma_f64 v[100:101], v[58:59], s[26:27], -v[100:101]
	v_fma_f64 v[178:179], v[6:7], s[30:31], v[102:103]
	v_mul_f64 v[120:121], v[10:11], s[0:1]
	v_mul_f64 v[122:123], v[38:39], s[2:3]
	v_fma_f64 v[180:181], v[58:59], s[20:21], v[104:105]
	v_fma_f64 v[182:183], v[6:7], s[18:19], v[106:107]
	v_mul_f64 v[10:11], v[10:11], s[24:25]
	v_mul_f64 v[38:39], v[38:39], s[26:27]
	v_fma_f64 v[104:105], v[58:59], s[20:21], -v[104:105]
	v_fma_f64 v[102:103], v[6:7], s[36:37], v[102:103]
	v_add_f64 v[8:9], v[8:9], v[16:17]
	v_add_f64 v[4:5], v[4:5], v[18:19]
	v_mul_f64 v[16:17], v[74:75], s[20:21]
	v_fma_f64 v[18:19], v[56:57], s[2:3], v[80:81]
	v_fma_f64 v[74:75], v[0:1], s[10:11], v[82:83]
	v_fma_f64 v[80:81], v[56:57], s[2:3], -v[80:81]
	v_fma_f64 v[82:83], v[0:1], s[0:1], v[82:83]
	v_fma_f64 v[0:1], v[0:1], s[30:31], v[2:3]
	;; [unrolled: 1-line block ×4, first 2 shown]
	v_fma_f64 v[96:97], v[58:59], s[14:15], -v[96:97]
	v_fma_f64 v[98:99], v[6:7], s[12:13], v[98:99]
	v_fma_f64 v[174:175], v[6:7], s[28:29], v[12:13]
	v_add_f64 v[156:157], v[52:53], v[156:157]
	v_add_f64 v[158:159], v[54:55], v[158:159]
	v_fma_f64 v[176:177], v[58:59], s[34:35], v[14:15]
	v_add_f64 v[84:85], v[52:53], v[84:85]
	v_add_f64 v[160:161], v[52:53], v[160:161]
	;; [unrolled: 1-line block ×3, first 2 shown]
	v_fma_f64 v[14:15], v[58:59], s[34:35], -v[14:15]
	v_add_f64 v[88:89], v[52:53], v[88:89]
	v_add_f64 v[164:165], v[52:53], v[164:165]
	;; [unrolled: 1-line block ×6, first 2 shown]
	v_fma_f64 v[12:13], v[6:7], s[24:25], v[12:13]
	v_add_f64 v[32:33], v[52:53], v[32:33]
	v_add_f64 v[90:91], v[54:55], v[90:91]
	;; [unrolled: 1-line block ×3, first 2 shown]
	v_fma_f64 v[186:187], v[60:61], s[34:35], v[112:113]
	v_fma_f64 v[188:189], v[62:63], s[30:31], v[114:115]
	;; [unrolled: 1-line block ×4, first 2 shown]
	v_fma_f64 v[116:117], v[60:61], s[14:15], -v[116:117]
	v_fma_f64 v[112:113], v[60:61], s[34:35], -v[112:113]
	v_fma_f64 v[118:119], v[62:63], s[16:17], v[118:119]
	v_fma_f64 v[114:115], v[62:63], s[36:37], v[114:115]
	v_add_f64 v[8:9], v[8:9], v[24:25]
	v_add_f64 v[4:5], v[4:5], v[26:27]
	v_fma_f64 v[24:25], v[6:7], s[22:23], v[106:107]
	v_add_f64 v[18:19], v[52:53], v[18:19]
	v_fma_f64 v[26:27], v[58:59], s[2:3], v[34:35]
	v_add_f64 v[80:81], v[52:53], v[80:81]
	v_add_f64 v[82:83], v[54:55], v[82:83]
	v_fma_f64 v[106:107], v[6:7], s[0:1], v[36:37]
	v_fma_f64 v[34:35], v[58:59], s[2:3], -v[34:35]
	v_fma_f64 v[6:7], v[6:7], s[10:11], v[36:37]
	v_add_f64 v[0:1], v[54:55], v[0:1]
	v_add_f64 v[52:53], v[54:55], v[94:95]
	v_fma_f64 v[36:37], v[60:61], s[20:21], v[108:109]
	v_fma_f64 v[58:59], v[62:63], s[22:23], v[110:111]
	;; [unrolled: 1-line block ×3, first 2 shown]
	v_fma_f64 v[108:109], v[60:61], s[20:21], -v[108:109]
	v_add_f64 v[84:85], v[100:101], v[84:85]
	v_fma_f64 v[94:95], v[62:63], s[0:1], v[122:123]
	v_add_f64 v[100:101], v[178:179], v[162:163]
	v_mul_f64 v[152:153], v[78:79], s[16:17]
	v_add_f64 v[14:15], v[14:15], v[88:89]
	v_add_f64 v[88:89], v[180:181], v[164:165]
	v_mul_f64 v[78:79], v[78:79], s[18:19]
	v_add_f64 v[92:93], v[104:105], v[92:93]
	v_fma_f64 v[197:198], v[64:65], s[20:21], v[128:129]
	v_fma_f64 v[199:200], v[70:71], s[18:19], v[130:131]
	v_fma_f64 v[128:129], v[64:65], s[20:21], -v[128:129]
	v_fma_f64 v[130:131], v[70:71], s[22:23], v[130:131]
	v_add_f64 v[12:13], v[12:13], v[86:87]
	v_fma_f64 v[86:87], v[70:71], s[36:37], v[138:139]
	v_add_f64 v[8:9], v[8:9], v[28:29]
	v_add_f64 v[4:5], v[4:5], v[30:31]
	;; [unrolled: 1-line block ×4, first 2 shown]
	v_fma_f64 v[30:31], v[60:61], s[2:3], v[120:121]
	v_add_f64 v[18:19], v[96:97], v[80:81]
	v_add_f64 v[80:81], v[98:99], v[82:83]
	;; [unrolled: 1-line block ×5, first 2 shown]
	v_fma_f64 v[54:55], v[62:63], s[10:11], v[122:123]
	v_add_f64 v[156:157], v[182:183], v[166:167]
	v_fma_f64 v[74:75], v[60:61], s[2:3], -v[120:121]
	v_fma_f64 v[120:121], v[60:61], s[26:27], v[10:11]
	v_fma_f64 v[122:123], v[62:63], s[28:29], v[38:39]
	v_add_f64 v[26:27], v[26:27], v[168:169]
	v_add_f64 v[104:105], v[106:107], v[170:171]
	v_fma_f64 v[10:11], v[60:61], s[26:27], -v[10:11]
	v_fma_f64 v[38:39], v[62:63], s[24:25], v[38:39]
	v_add_f64 v[32:33], v[34:35], v[32:33]
	v_add_f64 v[0:1], v[6:7], v[0:1]
	;; [unrolled: 1-line block ×4, first 2 shown]
	v_fma_f64 v[60:61], v[64:65], s[26:27], v[124:125]
	v_fma_f64 v[124:125], v[64:65], s[26:27], -v[124:125]
	v_fma_f64 v[34:35], v[64:65], s[2:3], -v[132:133]
	v_add_f64 v[14:15], v[116:117], v[14:15]
	v_fma_f64 v[106:107], v[64:65], s[14:15], v[68:69]
	v_add_f64 v[84:85], v[112:113], v[84:85]
	v_fma_f64 v[90:91], v[64:65], s[34:35], -v[136:137]
	v_fma_f64 v[102:103], v[70:71], s[30:31], v[138:139]
	v_fma_f64 v[52:53], v[70:71], s[0:1], v[134:135]
	v_add_f64 v[12:13], v[114:115], v[12:13]
	v_fma_f64 v[62:63], v[70:71], s[28:29], v[126:127]
	v_fma_f64 v[126:127], v[70:71], s[24:25], v[126:127]
	v_fma_f64 v[114:115], v[72:73], s[14:15], -v[152:153]
	v_fma_f64 v[112:113], v[76:77], s[12:13], v[154:155]
	v_fma_f64 v[116:117], v[76:77], s[16:17], v[154:155]
	v_add_f64 v[8:9], v[8:9], v[20:21]
	v_add_f64 v[4:5], v[4:5], v[22:23]
	v_add_f64 v[20:21], v[56:57], v[28:29]
	v_add_f64 v[2:3], v[36:37], v[2:3]
	v_fma_f64 v[22:23], v[64:65], s[2:3], v[132:133]
	v_fma_f64 v[28:29], v[70:71], s[10:11], v[134:135]
	v_add_f64 v[36:37], v[110:111], v[80:81]
	v_add_f64 v[80:81], v[186:187], v[82:83]
	;; [unrolled: 1-line block ×5, first 2 shown]
	v_fma_f64 v[56:57], v[64:65], s[34:35], v[136:137]
	v_add_f64 v[18:19], v[108:109], v[18:19]
	v_add_f64 v[30:31], v[30:31], v[88:89]
	v_add_f64 v[54:55], v[54:55], v[156:157]
	v_fma_f64 v[132:133], v[70:71], s[12:13], v[66:67]
	v_add_f64 v[26:27], v[120:121], v[26:27]
	v_add_f64 v[88:89], v[122:123], v[104:105]
	v_fma_f64 v[64:65], v[64:65], s[14:15], -v[68:69]
	v_fma_f64 v[66:67], v[70:71], s[16:17], v[66:67]
	v_add_f64 v[10:11], v[10:11], v[32:33]
	v_add_f64 v[0:1], v[38:39], v[0:1]
	;; [unrolled: 1-line block ×5, first 2 shown]
	v_fma_f64 v[68:69], v[72:73], s[34:35], v[140:141]
	v_fma_f64 v[70:71], v[72:73], s[34:35], -v[140:141]
	v_fma_f64 v[32:33], v[72:73], s[2:3], v[144:145]
	v_fma_f64 v[38:39], v[76:77], s[0:1], v[146:147]
	;; [unrolled: 1-line block ×3, first 2 shown]
	v_fma_f64 v[104:105], v[72:73], s[26:27], -v[148:149]
	v_fma_f64 v[110:111], v[72:73], s[14:15], v[152:153]
	v_fma_f64 v[118:119], v[72:73], s[20:21], v[78:79]
	v_fma_f64 v[122:123], v[72:73], s[20:21], -v[78:79]
	v_fma_f64 v[100:101], v[76:77], s[28:29], v[150:151]
	v_add_f64 v[14:15], v[34:35], v[14:15]
	v_fma_f64 v[134:135], v[76:77], s[36:37], v[142:143]
	v_fma_f64 v[136:137], v[76:77], s[30:31], v[142:143]
	v_add_f64 v[8:9], v[8:9], v[50:51]
	v_add_f64 v[4:5], v[4:5], v[48:49]
	;; [unrolled: 1-line block ×3, first 2 shown]
	v_fma_f64 v[58:59], v[72:73], s[2:3], -v[144:145]
	v_add_f64 v[2:3], v[60:61], v[2:3]
	v_fma_f64 v[92:93], v[76:77], s[10:11], v[146:147]
	v_fma_f64 v[108:109], v[76:77], s[24:25], v[150:151]
	v_add_f64 v[60:61], v[197:198], v[80:81]
	v_add_f64 v[72:73], v[199:200], v[82:83]
	;; [unrolled: 1-line block ×4, first 2 shown]
	v_fma_f64 v[120:121], v[76:77], s[22:23], v[16:17]
	v_add_f64 v[18:19], v[124:125], v[18:19]
	v_add_f64 v[30:31], v[56:57], v[30:31]
	;; [unrolled: 1-line block ×3, first 2 shown]
	v_fma_f64 v[16:17], v[76:77], s[18:19], v[16:17]
	v_add_f64 v[76:77], v[128:129], v[84:85]
	v_add_f64 v[26:27], v[106:107], v[26:27]
	;; [unrolled: 1-line block ×10, first 2 shown]
	s_mul_i32 s1, s5, 0x3c8
	s_mul_hi_u32 s2, s4, 0x3c8
	s_mul_i32 s0, s4, 0x3c8
	s_mul_hi_u32 s3, s4, 0xfffffce8
	s_add_i32 s1, s2, s1
	v_add_f64 v[64:65], v[104:105], v[14:15]
	v_add_f64 v[8:9], v[8:9], v[46:47]
	;; [unrolled: 1-line block ×5, first 2 shown]
	v_mad_u64_u32 v[2:3], null, s4, v192, 0
	v_add_f64 v[52:53], v[32:33], v[60:61]
	v_add_f64 v[54:55], v[38:39], v[72:73]
	;; [unrolled: 1-line block ×20, first 2 shown]
	ds_store_b128 v191, v[52:55] offset:5632
	ds_store_b128 v191, v[60:63] offset:8448
	;; [unrolled: 1-line block ×9, first 2 shown]
	ds_store_b128 v191, v[84:87]
	ds_store_b128 v191, v[44:47] offset:2816
	s_waitcnt lgkmcnt(0)
	s_barrier
	buffer_gl0_inv
	ds_load_b128 v[40:43], v191
	ds_load_b128 v[44:47], v191 offset:15488
	scratch_load_b64 v[0:1], off, off offset:16 ; 8-byte Folded Reload
	ds_load_b128 v[48:51], v191 offset:2816
	ds_load_b128 v[52:55], v191 offset:18304
	;; [unrolled: 1-line block ×8, first 2 shown]
	s_clause 0x2
	scratch_load_b128 v[88:91], off, off offset:32
	scratch_load_b128 v[98:101], off, off offset:96
	scratch_load_b128 v[106:109], off, off offset:144
	s_waitcnt vmcnt(3)
	v_mov_b32_e32 v6, v0
	s_waitcnt vmcnt(2) lgkmcnt(9)
	v_mul_f64 v[7:8], v[90:91], v[40:41]
	s_waitcnt vmcnt(1) lgkmcnt(8)
	v_mul_f64 v[9:10], v[100:101], v[46:47]
	v_mad_u64_u32 v[0:1], null, s6, v6, 0
	v_mul_f64 v[11:12], v[100:101], v[44:45]
	scratch_load_b128 v[100:103], off, off offset:112 ; 16-byte Folded Reload
	s_mul_i32 s6, s4, 0xfffffce8
	s_sub_i32 s4, s3, s4
	s_lshl_b64 s[2:3], s[0:1], 4
	s_waitcnt vmcnt(1) lgkmcnt(4)
	v_mul_f64 v[25:26], v[108:109], v[62:63]
	v_mad_u64_u32 v[4:5], null, s7, v6, v[1:2]
	v_mul_f64 v[5:6], v[90:91], v[42:43]
	scratch_load_b128 v[90:93], off, off offset:48 ; 16-byte Folded Reload
	v_mul_f64 v[27:28], v[108:109], v[60:61]
	scratch_load_b128 v[108:111], off, off offset:160 ; 16-byte Folded Reload
	v_mov_b32_e32 v1, v4
	v_mad_u64_u32 v[86:87], null, s5, v192, v[3:4]
	s_mulk_i32 s5, 0xfce8
	s_delay_alu instid0(VALU_DEP_2) | instskip(SKIP_1) | instid1(SALU_CYCLE_1)
	v_lshlrev_b64 v[0:1], 4, v[0:1]
	s_add_i32 s7, s4, s5
	s_lshl_b64 s[4:5], s[6:7], 4
	s_delay_alu instid0(VALU_DEP_2) | instskip(SKIP_1) | instid1(VALU_DEP_2)
	v_mov_b32_e32 v3, v86
	s_mov_b32 s6, 0x6be69c90
	v_add_co_u32 v86, s0, s8, v0
	s_delay_alu instid0(VALU_DEP_1) | instskip(NEXT) | instid1(VALU_DEP_3)
	v_add_co_ci_u32_e64 v87, s0, s9, v1, s0
	v_lshlrev_b64 v[2:3], 4, v[2:3]
	s_mov_b32 s7, 0x3f40ecf5
	v_fma_f64 v[0:1], v[88:89], v[40:41], v[5:6]
	v_fma_f64 v[4:5], v[88:89], v[42:43], -v[7:8]
	v_fma_f64 v[6:7], v[98:99], v[44:45], v[9:10]
	v_fma_f64 v[8:9], v[98:99], v[46:47], -v[11:12]
	v_add_co_u32 v42, s0, v86, v2
	s_delay_alu instid0(VALU_DEP_1) | instskip(NEXT) | instid1(VALU_DEP_2)
	v_add_co_ci_u32_e64 v43, s0, v87, v3, s0
	v_add_co_u32 v44, s0, v42, s2
	s_delay_alu instid0(VALU_DEP_1) | instskip(NEXT) | instid1(VALU_DEP_2)
	v_add_co_ci_u32_e64 v45, s0, s3, v43, s0
	v_add_co_u32 v46, s0, v44, s4
	s_delay_alu instid0(VALU_DEP_1)
	v_add_co_ci_u32_e64 v47, s0, s5, v45, s0
	v_mul_f64 v[2:3], v[0:1], s[6:7]
	v_mul_f64 v[4:5], v[4:5], s[6:7]
	;; [unrolled: 1-line block ×4, first 2 shown]
	s_waitcnt vmcnt(2) lgkmcnt(3)
	v_mul_f64 v[29:30], v[102:103], v[66:67]
	v_mul_f64 v[31:32], v[102:103], v[64:65]
	scratch_load_b128 v[102:105], off, off offset:128 ; 16-byte Folded Reload
	s_waitcnt vmcnt(2)
	v_mul_f64 v[13:14], v[92:93], v[50:51]
	v_mul_f64 v[15:16], v[92:93], v[48:49]
	scratch_load_b128 v[92:95], off, off offset:64 ; 16-byte Folded Reload
	s_waitcnt vmcnt(2) lgkmcnt(1)
	v_mul_f64 v[37:38], v[110:111], v[74:75]
	v_mul_f64 v[80:81], v[110:111], v[72:73]
	scratch_load_b128 v[110:113], off, off offset:176 ; 16-byte Folded Reload
	v_fma_f64 v[10:11], v[90:91], v[48:49], v[13:14]
	v_fma_f64 v[12:13], v[90:91], v[50:51], -v[15:16]
	v_add_co_u32 v48, s0, v46, s2
	s_delay_alu instid0(VALU_DEP_1) | instskip(NEXT) | instid1(VALU_DEP_2)
	v_add_co_ci_u32_e64 v49, s0, s3, v47, s0
	v_add_co_u32 v50, s0, v48, s4
	s_delay_alu instid0(VALU_DEP_1)
	v_add_co_ci_u32_e64 v51, s0, s5, v49, s0
	v_mul_f64 v[10:11], v[10:11], s[6:7]
	v_mul_f64 v[12:13], v[12:13], s[6:7]
	s_waitcnt vmcnt(2)
	v_mul_f64 v[33:34], v[104:105], v[70:71]
	v_mul_f64 v[35:36], v[104:105], v[68:69]
	s_waitcnt vmcnt(1)
	v_mul_f64 v[17:18], v[94:95], v[54:55]
	v_mul_f64 v[19:20], v[94:95], v[52:53]
	scratch_load_b128 v[94:97], off, off offset:80 ; 16-byte Folded Reload
	s_waitcnt vmcnt(1) lgkmcnt(0)
	v_mul_f64 v[82:83], v[112:113], v[78:79]
	v_mul_f64 v[84:85], v[112:113], v[76:77]
	v_fma_f64 v[14:15], v[92:93], v[52:53], v[17:18]
	v_fma_f64 v[16:17], v[92:93], v[54:55], -v[19:20]
	v_add_co_u32 v52, s0, v50, s2
	s_delay_alu instid0(VALU_DEP_1) | instskip(SKIP_1) | instid1(VALU_DEP_3)
	v_add_co_ci_u32_e64 v53, s0, s3, v51, s0
	v_fma_f64 v[40:41], v[110:111], v[78:79], -v[84:85]
	v_add_co_u32 v54, s0, v52, s4
	s_delay_alu instid0(VALU_DEP_1)
	v_add_co_ci_u32_e64 v55, s0, s5, v53, s0
	v_mul_f64 v[14:15], v[14:15], s[6:7]
	v_mul_f64 v[16:17], v[16:17], s[6:7]
	;; [unrolled: 1-line block ×3, first 2 shown]
	s_waitcnt vmcnt(0)
	v_mul_f64 v[21:22], v[96:97], v[58:59]
	v_mul_f64 v[23:24], v[96:97], v[56:57]
	s_delay_alu instid0(VALU_DEP_2) | instskip(NEXT) | instid1(VALU_DEP_2)
	v_fma_f64 v[18:19], v[94:95], v[56:57], v[21:22]
	v_fma_f64 v[20:21], v[94:95], v[58:59], -v[23:24]
	v_fma_f64 v[22:23], v[106:107], v[60:61], v[25:26]
	v_fma_f64 v[24:25], v[106:107], v[62:63], -v[27:28]
	;; [unrolled: 2-line block ×5, first 2 shown]
	v_fma_f64 v[38:39], v[110:111], v[76:77], v[82:83]
	v_add_co_u32 v56, s0, v54, s2
	s_delay_alu instid0(VALU_DEP_1) | instskip(NEXT) | instid1(VALU_DEP_2)
	v_add_co_ci_u32_e64 v57, s0, s3, v55, s0
	v_add_co_u32 v58, s0, v56, s4
	s_delay_alu instid0(VALU_DEP_1) | instskip(NEXT) | instid1(VALU_DEP_2)
	v_add_co_ci_u32_e64 v59, s0, s5, v57, s0
	v_add_co_u32 v0, s0, v58, s2
	s_delay_alu instid0(VALU_DEP_1)
	v_add_co_ci_u32_e64 v1, s0, s3, v59, s0
	v_mul_f64 v[18:19], v[18:19], s[6:7]
	v_mul_f64 v[20:21], v[20:21], s[6:7]
	;; [unrolled: 1-line block ×11, first 2 shown]
	s_clause 0x4
	global_store_b128 v[42:43], v[2:5], off
	global_store_b128 v[44:45], v[6:9], off
	;; [unrolled: 1-line block ×10, first 2 shown]
	s_and_b32 exec_lo, exec_lo, vcc_lo
	s_cbranch_execz .LBB0_31
; %bb.30:
	scratch_load_b64 v[2:3], off, off offset:24 ; 8-byte Folded Reload
	v_add_co_u32 v0, vcc_lo, v0, s4
	v_add_co_ci_u32_e32 v1, vcc_lo, s5, v1, vcc_lo
	s_waitcnt vmcnt(0)
	s_clause 0x1
	global_load_b128 v[2:5], v[2:3], off offset:1792
	global_load_b128 v[6:9], v[184:185], off offset:896
	ds_load_b128 v[10:13], v191 offset:14080
	ds_load_b128 v[14:17], v191 offset:29568
	s_waitcnt vmcnt(1) lgkmcnt(1)
	v_mul_f64 v[18:19], v[12:13], v[4:5]
	v_mul_f64 v[4:5], v[10:11], v[4:5]
	s_waitcnt vmcnt(0) lgkmcnt(0)
	v_mul_f64 v[20:21], v[16:17], v[8:9]
	v_mul_f64 v[8:9], v[14:15], v[8:9]
	s_delay_alu instid0(VALU_DEP_4) | instskip(NEXT) | instid1(VALU_DEP_4)
	v_fma_f64 v[10:11], v[10:11], v[2:3], v[18:19]
	v_fma_f64 v[4:5], v[2:3], v[12:13], -v[4:5]
	s_delay_alu instid0(VALU_DEP_4) | instskip(NEXT) | instid1(VALU_DEP_4)
	v_fma_f64 v[12:13], v[14:15], v[6:7], v[20:21]
	v_fma_f64 v[8:9], v[6:7], v[16:17], -v[8:9]
	s_delay_alu instid0(VALU_DEP_4) | instskip(NEXT) | instid1(VALU_DEP_4)
	v_mul_f64 v[2:3], v[10:11], s[6:7]
	v_mul_f64 v[4:5], v[4:5], s[6:7]
	s_delay_alu instid0(VALU_DEP_4) | instskip(NEXT) | instid1(VALU_DEP_4)
	v_mul_f64 v[6:7], v[12:13], s[6:7]
	v_mul_f64 v[8:9], v[8:9], s[6:7]
	v_add_co_u32 v10, vcc_lo, v0, s2
	v_add_co_ci_u32_e32 v11, vcc_lo, s3, v1, vcc_lo
	global_store_b128 v[0:1], v[2:5], off
	global_store_b128 v[10:11], v[6:9], off
.LBB0_31:
	s_nop 0
	s_sendmsg sendmsg(MSG_DEALLOC_VGPRS)
	s_endpgm
	.section	.rodata,"a",@progbits
	.p2align	6, 0x0
	.amdhsa_kernel bluestein_single_fwd_len1936_dim1_dp_op_CI_CI
		.amdhsa_group_segment_fixed_size 30976
		.amdhsa_private_segment_fixed_size 368
		.amdhsa_kernarg_size 104
		.amdhsa_user_sgpr_count 15
		.amdhsa_user_sgpr_dispatch_ptr 0
		.amdhsa_user_sgpr_queue_ptr 0
		.amdhsa_user_sgpr_kernarg_segment_ptr 1
		.amdhsa_user_sgpr_dispatch_id 0
		.amdhsa_user_sgpr_private_segment_size 0
		.amdhsa_wavefront_size32 1
		.amdhsa_uses_dynamic_stack 0
		.amdhsa_enable_private_segment 1
		.amdhsa_system_sgpr_workgroup_id_x 1
		.amdhsa_system_sgpr_workgroup_id_y 0
		.amdhsa_system_sgpr_workgroup_id_z 0
		.amdhsa_system_sgpr_workgroup_info 0
		.amdhsa_system_vgpr_workitem_id 0
		.amdhsa_next_free_vgpr 256
		.amdhsa_next_free_sgpr 40
		.amdhsa_reserve_vcc 1
		.amdhsa_float_round_mode_32 0
		.amdhsa_float_round_mode_16_64 0
		.amdhsa_float_denorm_mode_32 3
		.amdhsa_float_denorm_mode_16_64 3
		.amdhsa_dx10_clamp 1
		.amdhsa_ieee_mode 1
		.amdhsa_fp16_overflow 0
		.amdhsa_workgroup_processor_mode 1
		.amdhsa_memory_ordered 1
		.amdhsa_forward_progress 0
		.amdhsa_shared_vgpr_count 0
		.amdhsa_exception_fp_ieee_invalid_op 0
		.amdhsa_exception_fp_denorm_src 0
		.amdhsa_exception_fp_ieee_div_zero 0
		.amdhsa_exception_fp_ieee_overflow 0
		.amdhsa_exception_fp_ieee_underflow 0
		.amdhsa_exception_fp_ieee_inexact 0
		.amdhsa_exception_int_div_zero 0
	.end_amdhsa_kernel
	.text
.Lfunc_end0:
	.size	bluestein_single_fwd_len1936_dim1_dp_op_CI_CI, .Lfunc_end0-bluestein_single_fwd_len1936_dim1_dp_op_CI_CI
                                        ; -- End function
	.section	.AMDGPU.csdata,"",@progbits
; Kernel info:
; codeLenInByte = 21660
; NumSgprs: 42
; NumVgprs: 256
; ScratchSize: 368
; MemoryBound: 0
; FloatMode: 240
; IeeeMode: 1
; LDSByteSize: 30976 bytes/workgroup (compile time only)
; SGPRBlocks: 5
; VGPRBlocks: 31
; NumSGPRsForWavesPerEU: 42
; NumVGPRsForWavesPerEU: 256
; Occupancy: 5
; WaveLimiterHint : 1
; COMPUTE_PGM_RSRC2:SCRATCH_EN: 1
; COMPUTE_PGM_RSRC2:USER_SGPR: 15
; COMPUTE_PGM_RSRC2:TRAP_HANDLER: 0
; COMPUTE_PGM_RSRC2:TGID_X_EN: 1
; COMPUTE_PGM_RSRC2:TGID_Y_EN: 0
; COMPUTE_PGM_RSRC2:TGID_Z_EN: 0
; COMPUTE_PGM_RSRC2:TIDIG_COMP_CNT: 0
	.text
	.p2alignl 7, 3214868480
	.fill 96, 4, 3214868480
	.type	__hip_cuid_f6b389ddfa4e654e,@object ; @__hip_cuid_f6b389ddfa4e654e
	.section	.bss,"aw",@nobits
	.globl	__hip_cuid_f6b389ddfa4e654e
__hip_cuid_f6b389ddfa4e654e:
	.byte	0                               ; 0x0
	.size	__hip_cuid_f6b389ddfa4e654e, 1

	.ident	"AMD clang version 19.0.0git (https://github.com/RadeonOpenCompute/llvm-project roc-6.4.0 25133 c7fe45cf4b819c5991fe208aaa96edf142730f1d)"
	.section	".note.GNU-stack","",@progbits
	.addrsig
	.addrsig_sym __hip_cuid_f6b389ddfa4e654e
	.amdgpu_metadata
---
amdhsa.kernels:
  - .args:
      - .actual_access:  read_only
        .address_space:  global
        .offset:         0
        .size:           8
        .value_kind:     global_buffer
      - .actual_access:  read_only
        .address_space:  global
        .offset:         8
        .size:           8
        .value_kind:     global_buffer
      - .actual_access:  read_only
        .address_space:  global
        .offset:         16
        .size:           8
        .value_kind:     global_buffer
      - .actual_access:  read_only
        .address_space:  global
        .offset:         24
        .size:           8
        .value_kind:     global_buffer
      - .actual_access:  read_only
        .address_space:  global
        .offset:         32
        .size:           8
        .value_kind:     global_buffer
      - .offset:         40
        .size:           8
        .value_kind:     by_value
      - .address_space:  global
        .offset:         48
        .size:           8
        .value_kind:     global_buffer
      - .address_space:  global
        .offset:         56
        .size:           8
        .value_kind:     global_buffer
      - .address_space:  global
        .offset:         64
        .size:           8
        .value_kind:     global_buffer
      - .address_space:  global
        .offset:         72
        .size:           8
        .value_kind:     global_buffer
      - .offset:         80
        .size:           4
        .value_kind:     by_value
      - .address_space:  global
        .offset:         88
        .size:           8
        .value_kind:     global_buffer
      - .address_space:  global
        .offset:         96
        .size:           8
        .value_kind:     global_buffer
    .group_segment_fixed_size: 30976
    .kernarg_segment_align: 8
    .kernarg_segment_size: 104
    .language:       OpenCL C
    .language_version:
      - 2
      - 0
    .max_flat_workgroup_size: 176
    .name:           bluestein_single_fwd_len1936_dim1_dp_op_CI_CI
    .private_segment_fixed_size: 368
    .sgpr_count:     42
    .sgpr_spill_count: 0
    .symbol:         bluestein_single_fwd_len1936_dim1_dp_op_CI_CI.kd
    .uniform_work_group_size: 1
    .uses_dynamic_stack: false
    .vgpr_count:     256
    .vgpr_spill_count: 95
    .wavefront_size: 32
    .workgroup_processor_mode: 1
amdhsa.target:   amdgcn-amd-amdhsa--gfx1100
amdhsa.version:
  - 1
  - 2
...

	.end_amdgpu_metadata
